;; amdgpu-corpus repo=ROCm/rocFFT kind=compiled arch=gfx1030 opt=O3
	.text
	.amdgcn_target "amdgcn-amd-amdhsa--gfx1030"
	.amdhsa_code_object_version 6
	.protected	fft_rtc_back_len1512_factors_2_2_2_3_3_3_7_wgs_63_tpt_63_halfLds_half_op_CI_CI_unitstride_sbrr_C2R_dirReg ; -- Begin function fft_rtc_back_len1512_factors_2_2_2_3_3_3_7_wgs_63_tpt_63_halfLds_half_op_CI_CI_unitstride_sbrr_C2R_dirReg
	.globl	fft_rtc_back_len1512_factors_2_2_2_3_3_3_7_wgs_63_tpt_63_halfLds_half_op_CI_CI_unitstride_sbrr_C2R_dirReg
	.p2align	8
	.type	fft_rtc_back_len1512_factors_2_2_2_3_3_3_7_wgs_63_tpt_63_halfLds_half_op_CI_CI_unitstride_sbrr_C2R_dirReg,@function
fft_rtc_back_len1512_factors_2_2_2_3_3_3_7_wgs_63_tpt_63_halfLds_half_op_CI_CI_unitstride_sbrr_C2R_dirReg: ; @fft_rtc_back_len1512_factors_2_2_2_3_3_3_7_wgs_63_tpt_63_halfLds_half_op_CI_CI_unitstride_sbrr_C2R_dirReg
; %bb.0:
	s_clause 0x2
	s_load_dwordx4 s[12:15], s[4:5], 0x0
	s_load_dwordx4 s[8:11], s[4:5], 0x58
	;; [unrolled: 1-line block ×3, first 2 shown]
	v_mul_u32_u24_e32 v1, 0x411, v0
	v_mov_b32_e32 v3, 0
	v_mov_b32_e32 v7, 0
	;; [unrolled: 1-line block ×3, first 2 shown]
	v_add_nc_u32_sdwa v9, s6, v1 dst_sel:DWORD dst_unused:UNUSED_PAD src0_sel:DWORD src1_sel:WORD_1
	v_mov_b32_e32 v10, v3
	s_waitcnt lgkmcnt(0)
	v_cmp_lt_u64_e64 s0, s[14:15], 2
	s_and_b32 vcc_lo, exec_lo, s0
	s_cbranch_vccnz .LBB0_8
; %bb.1:
	s_load_dwordx2 s[0:1], s[4:5], 0x10
	v_mov_b32_e32 v7, 0
	v_mov_b32_e32 v8, 0
	s_add_u32 s2, s18, 8
	s_addc_u32 s3, s19, 0
	v_mov_b32_e32 v1, v7
	s_add_u32 s6, s16, 8
	v_mov_b32_e32 v2, v8
	s_addc_u32 s7, s17, 0
	s_mov_b64 s[22:23], 1
	s_waitcnt lgkmcnt(0)
	s_add_u32 s20, s0, 8
	s_addc_u32 s21, s1, 0
.LBB0_2:                                ; =>This Inner Loop Header: Depth=1
	s_load_dwordx2 s[24:25], s[20:21], 0x0
                                        ; implicit-def: $vgpr5_vgpr6
	s_mov_b32 s0, exec_lo
	s_waitcnt lgkmcnt(0)
	v_or_b32_e32 v4, s25, v10
	v_cmpx_ne_u64_e32 0, v[3:4]
	s_xor_b32 s1, exec_lo, s0
	s_cbranch_execz .LBB0_4
; %bb.3:                                ;   in Loop: Header=BB0_2 Depth=1
	v_cvt_f32_u32_e32 v4, s24
	v_cvt_f32_u32_e32 v5, s25
	s_sub_u32 s0, 0, s24
	s_subb_u32 s26, 0, s25
	v_fmac_f32_e32 v4, 0x4f800000, v5
	v_rcp_f32_e32 v4, v4
	v_mul_f32_e32 v4, 0x5f7ffffc, v4
	v_mul_f32_e32 v5, 0x2f800000, v4
	v_trunc_f32_e32 v5, v5
	v_fmac_f32_e32 v4, 0xcf800000, v5
	v_cvt_u32_f32_e32 v5, v5
	v_cvt_u32_f32_e32 v4, v4
	v_mul_lo_u32 v6, s0, v5
	v_mul_hi_u32 v11, s0, v4
	v_mul_lo_u32 v12, s26, v4
	v_add_nc_u32_e32 v6, v11, v6
	v_mul_lo_u32 v11, s0, v4
	v_add_nc_u32_e32 v6, v6, v12
	v_mul_hi_u32 v12, v4, v11
	v_mul_lo_u32 v13, v4, v6
	v_mul_hi_u32 v14, v4, v6
	v_mul_hi_u32 v15, v5, v11
	v_mul_lo_u32 v11, v5, v11
	v_mul_hi_u32 v16, v5, v6
	v_mul_lo_u32 v6, v5, v6
	v_add_co_u32 v12, vcc_lo, v12, v13
	v_add_co_ci_u32_e32 v13, vcc_lo, 0, v14, vcc_lo
	v_add_co_u32 v11, vcc_lo, v12, v11
	v_add_co_ci_u32_e32 v11, vcc_lo, v13, v15, vcc_lo
	v_add_co_ci_u32_e32 v12, vcc_lo, 0, v16, vcc_lo
	v_add_co_u32 v6, vcc_lo, v11, v6
	v_add_co_ci_u32_e32 v11, vcc_lo, 0, v12, vcc_lo
	v_add_co_u32 v4, vcc_lo, v4, v6
	v_add_co_ci_u32_e32 v5, vcc_lo, v5, v11, vcc_lo
	v_mul_hi_u32 v6, s0, v4
	v_mul_lo_u32 v12, s26, v4
	v_mul_lo_u32 v11, s0, v5
	v_add_nc_u32_e32 v6, v6, v11
	v_mul_lo_u32 v11, s0, v4
	v_add_nc_u32_e32 v6, v6, v12
	v_mul_hi_u32 v12, v4, v11
	v_mul_lo_u32 v13, v4, v6
	v_mul_hi_u32 v14, v4, v6
	v_mul_hi_u32 v15, v5, v11
	v_mul_lo_u32 v11, v5, v11
	v_mul_hi_u32 v16, v5, v6
	v_mul_lo_u32 v6, v5, v6
	v_add_co_u32 v12, vcc_lo, v12, v13
	v_add_co_ci_u32_e32 v13, vcc_lo, 0, v14, vcc_lo
	v_add_co_u32 v11, vcc_lo, v12, v11
	v_add_co_ci_u32_e32 v11, vcc_lo, v13, v15, vcc_lo
	v_add_co_ci_u32_e32 v12, vcc_lo, 0, v16, vcc_lo
	v_add_co_u32 v6, vcc_lo, v11, v6
	v_add_co_ci_u32_e32 v11, vcc_lo, 0, v12, vcc_lo
	v_add_co_u32 v6, vcc_lo, v4, v6
	v_add_co_ci_u32_e32 v13, vcc_lo, v5, v11, vcc_lo
	v_mul_hi_u32 v15, v9, v6
	v_mad_u64_u32 v[11:12], null, v10, v6, 0
	v_mad_u64_u32 v[4:5], null, v9, v13, 0
	;; [unrolled: 1-line block ×3, first 2 shown]
	v_add_co_u32 v4, vcc_lo, v15, v4
	v_add_co_ci_u32_e32 v5, vcc_lo, 0, v5, vcc_lo
	v_add_co_u32 v4, vcc_lo, v4, v11
	v_add_co_ci_u32_e32 v4, vcc_lo, v5, v12, vcc_lo
	v_add_co_ci_u32_e32 v5, vcc_lo, 0, v14, vcc_lo
	v_add_co_u32 v11, vcc_lo, v4, v13
	v_add_co_ci_u32_e32 v6, vcc_lo, 0, v5, vcc_lo
	v_mul_lo_u32 v12, s25, v11
	v_mad_u64_u32 v[4:5], null, s24, v11, 0
	v_mul_lo_u32 v13, s24, v6
	v_sub_co_u32 v4, vcc_lo, v9, v4
	v_add3_u32 v5, v5, v13, v12
	v_sub_nc_u32_e32 v12, v10, v5
	v_subrev_co_ci_u32_e64 v12, s0, s25, v12, vcc_lo
	v_add_co_u32 v13, s0, v11, 2
	v_add_co_ci_u32_e64 v14, s0, 0, v6, s0
	v_sub_co_u32 v15, s0, v4, s24
	v_sub_co_ci_u32_e32 v5, vcc_lo, v10, v5, vcc_lo
	v_subrev_co_ci_u32_e64 v12, s0, 0, v12, s0
	v_cmp_le_u32_e32 vcc_lo, s24, v15
	v_cmp_eq_u32_e64 s0, s25, v5
	v_cndmask_b32_e64 v15, 0, -1, vcc_lo
	v_cmp_le_u32_e32 vcc_lo, s25, v12
	v_cndmask_b32_e64 v16, 0, -1, vcc_lo
	v_cmp_le_u32_e32 vcc_lo, s24, v4
	;; [unrolled: 2-line block ×3, first 2 shown]
	v_cndmask_b32_e64 v17, 0, -1, vcc_lo
	v_cmp_eq_u32_e32 vcc_lo, s25, v12
	v_cndmask_b32_e64 v4, v17, v4, s0
	v_cndmask_b32_e32 v12, v16, v15, vcc_lo
	v_add_co_u32 v15, vcc_lo, v11, 1
	v_add_co_ci_u32_e32 v16, vcc_lo, 0, v6, vcc_lo
	v_cmp_ne_u32_e32 vcc_lo, 0, v12
	v_cndmask_b32_e32 v5, v16, v14, vcc_lo
	v_cndmask_b32_e32 v12, v15, v13, vcc_lo
	v_cmp_ne_u32_e32 vcc_lo, 0, v4
	v_cndmask_b32_e32 v6, v6, v5, vcc_lo
	v_cndmask_b32_e32 v5, v11, v12, vcc_lo
.LBB0_4:                                ;   in Loop: Header=BB0_2 Depth=1
	s_andn2_saveexec_b32 s0, s1
	s_cbranch_execz .LBB0_6
; %bb.5:                                ;   in Loop: Header=BB0_2 Depth=1
	v_cvt_f32_u32_e32 v4, s24
	s_sub_i32 s1, 0, s24
	v_rcp_iflag_f32_e32 v4, v4
	v_mul_f32_e32 v4, 0x4f7ffffe, v4
	v_cvt_u32_f32_e32 v4, v4
	v_mul_lo_u32 v5, s1, v4
	v_mul_hi_u32 v5, v4, v5
	v_add_nc_u32_e32 v4, v4, v5
	v_mul_hi_u32 v4, v9, v4
	v_mul_lo_u32 v5, v4, s24
	v_add_nc_u32_e32 v6, 1, v4
	v_sub_nc_u32_e32 v5, v9, v5
	v_subrev_nc_u32_e32 v11, s24, v5
	v_cmp_le_u32_e32 vcc_lo, s24, v5
	v_cndmask_b32_e32 v5, v5, v11, vcc_lo
	v_cndmask_b32_e32 v4, v4, v6, vcc_lo
	v_cmp_le_u32_e32 vcc_lo, s24, v5
	v_add_nc_u32_e32 v6, 1, v4
	v_cndmask_b32_e32 v5, v4, v6, vcc_lo
	v_mov_b32_e32 v6, v3
.LBB0_6:                                ;   in Loop: Header=BB0_2 Depth=1
	s_or_b32 exec_lo, exec_lo, s0
	v_mul_lo_u32 v4, v6, s24
	v_mul_lo_u32 v13, v5, s25
	s_load_dwordx2 s[0:1], s[6:7], 0x0
	v_mad_u64_u32 v[11:12], null, v5, s24, 0
	s_load_dwordx2 s[24:25], s[2:3], 0x0
	s_add_u32 s22, s22, 1
	s_addc_u32 s23, s23, 0
	s_add_u32 s2, s2, 8
	s_addc_u32 s3, s3, 0
	s_add_u32 s6, s6, 8
	v_add3_u32 v4, v12, v13, v4
	v_sub_co_u32 v9, vcc_lo, v9, v11
	s_addc_u32 s7, s7, 0
	s_add_u32 s20, s20, 8
	v_sub_co_ci_u32_e32 v4, vcc_lo, v10, v4, vcc_lo
	s_addc_u32 s21, s21, 0
	s_waitcnt lgkmcnt(0)
	v_mul_lo_u32 v10, s0, v4
	v_mul_lo_u32 v11, s1, v9
	v_mad_u64_u32 v[7:8], null, s0, v9, v[7:8]
	v_mul_lo_u32 v4, s24, v4
	v_mul_lo_u32 v12, s25, v9
	v_mad_u64_u32 v[1:2], null, s24, v9, v[1:2]
	v_cmp_ge_u64_e64 s0, s[22:23], s[14:15]
	v_add3_u32 v8, v11, v8, v10
	v_add3_u32 v2, v12, v2, v4
	s_and_b32 vcc_lo, exec_lo, s0
	s_cbranch_vccnz .LBB0_9
; %bb.7:                                ;   in Loop: Header=BB0_2 Depth=1
	v_mov_b32_e32 v10, v6
	v_mov_b32_e32 v9, v5
	s_branch .LBB0_2
.LBB0_8:
	v_mov_b32_e32 v1, v7
	v_mov_b32_e32 v5, v9
	;; [unrolled: 1-line block ×4, first 2 shown]
.LBB0_9:
	s_load_dwordx2 s[0:1], s[4:5], 0x28
	v_mul_hi_u32 v4, 0x4104105, v0
	s_lshl_b64 s[4:5], s[14:15], 3
                                        ; implicit-def: $vgpr3
	s_add_u32 s2, s18, s4
	s_addc_u32 s3, s19, s5
	s_waitcnt lgkmcnt(0)
	v_cmp_gt_u64_e32 vcc_lo, s[0:1], v[5:6]
	v_cmp_le_u64_e64 s0, s[0:1], v[5:6]
	s_and_saveexec_b32 s1, s0
	s_xor_b32 s0, exec_lo, s1
; %bb.10:
	v_mul_u32_u24_e32 v3, 63, v4
                                        ; implicit-def: $vgpr4
                                        ; implicit-def: $vgpr7_vgpr8
	v_sub_nc_u32_e32 v3, v0, v3
                                        ; implicit-def: $vgpr0
; %bb.11:
	s_or_saveexec_b32 s1, s0
	s_load_dwordx2 s[2:3], s[2:3], 0x0
	s_xor_b32 exec_lo, exec_lo, s1
	s_cbranch_execz .LBB0_15
; %bb.12:
	s_add_u32 s4, s16, s4
	s_addc_u32 s5, s17, s5
	v_lshlrev_b64 v[7:8], 2, v[7:8]
	s_load_dwordx2 s[4:5], s[4:5], 0x0
	s_waitcnt lgkmcnt(0)
	v_mul_lo_u32 v3, s5, v5
	v_mul_lo_u32 v11, s4, v6
	v_mad_u64_u32 v[9:10], null, s4, v5, 0
	v_add3_u32 v10, v10, v11, v3
	v_mul_u32_u24_e32 v3, 63, v4
	v_lshlrev_b64 v[9:10], 2, v[9:10]
	v_sub_nc_u32_e32 v3, v0, v3
	v_lshlrev_b32_e32 v13, 2, v3
	v_add_co_u32 v0, s0, s8, v9
	v_add_co_ci_u32_e64 v4, s0, s9, v10, s0
	v_add_co_u32 v0, s0, v0, v7
	v_add_co_ci_u32_e64 v4, s0, v4, v8, s0
	;; [unrolled: 2-line block ×3, first 2 shown]
	s_clause 0x7
	global_load_dword v14, v[7:8], off
	global_load_dword v15, v[7:8], off offset:252
	global_load_dword v16, v[7:8], off offset:504
	;; [unrolled: 1-line block ×7, first 2 shown]
	v_add_co_u32 v9, s0, 0x800, v7
	v_add_co_ci_u32_e64 v10, s0, 0, v8, s0
	v_add_co_u32 v11, s0, 0x1000, v7
	v_add_co_ci_u32_e64 v12, s0, 0, v8, s0
	s_clause 0xf
	global_load_dword v7, v[7:8], off offset:2016
	global_load_dword v8, v[9:10], off offset:220
	;; [unrolled: 1-line block ×16, first 2 shown]
	v_add_nc_u32_e32 v12, 0, v13
	v_cmp_eq_u32_e64 s0, 62, v3
	v_add_nc_u32_e32 v13, 0x200, v12
	v_add_nc_u32_e32 v33, 0x400, v12
	;; [unrolled: 1-line block ×10, first 2 shown]
	s_waitcnt vmcnt(22)
	ds_write2_b32 v12, v14, v15 offset1:63
	s_waitcnt vmcnt(20)
	ds_write2_b32 v12, v16, v17 offset0:126 offset1:189
	s_waitcnt vmcnt(18)
	ds_write2_b32 v13, v18, v19 offset0:124 offset1:187
	s_waitcnt vmcnt(16)
	ds_write2_b32 v33, v20, v21 offset0:122 offset1:185
	s_waitcnt vmcnt(14)
	ds_write2_b32 v34, v7, v8 offset0:120 offset1:183
	s_waitcnt vmcnt(12)
	ds_write2_b32 v35, v22, v23 offset0:118 offset1:181
	s_waitcnt vmcnt(10)
	ds_write2_b32 v36, v24, v25 offset0:116 offset1:179
	s_waitcnt vmcnt(8)
	ds_write2_b32 v37, v26, v27 offset0:114 offset1:177
	s_waitcnt vmcnt(6)
	ds_write2_b32 v38, v9, v10 offset0:112 offset1:175
	s_waitcnt vmcnt(4)
	ds_write2_b32 v39, v28, v29 offset0:110 offset1:173
	s_waitcnt vmcnt(2)
	ds_write2_b32 v40, v30, v31 offset0:108 offset1:171
	s_waitcnt vmcnt(0)
	ds_write2_b32 v41, v32, v11 offset0:106 offset1:169
	s_and_saveexec_b32 s4, s0
	s_cbranch_execz .LBB0_14
; %bb.13:
	v_add_co_u32 v3, s0, 0x1000, v0
	v_add_co_ci_u32_e64 v4, s0, 0, v4, s0
	global_load_dword v0, v[3:4], off offset:1952
	v_mov_b32_e32 v4, 0
	v_mov_b32_e32 v3, 62
	s_waitcnt vmcnt(0)
	ds_write_b32 v4, v0 offset:6048
.LBB0_14:
	s_or_b32 exec_lo, exec_lo, s4
.LBB0_15:
	s_or_b32 exec_lo, exec_lo, s1
	v_lshlrev_b32_e32 v4, 2, v3
	s_waitcnt lgkmcnt(0)
	s_barrier
	buffer_gl0_inv
	s_add_u32 s1, s12, 0x1798
	v_add_nc_u32_e32 v0, 0, v4
	v_sub_nc_u32_e32 v9, 0, v4
	s_addc_u32 s4, s13, 0
	s_mov_b32 s5, exec_lo
                                        ; implicit-def: $vgpr7_vgpr8
	ds_read_u16 v12, v0
	ds_read_u16 v13, v9 offset:6048
	s_waitcnt lgkmcnt(0)
	v_add_f16_e32 v11, v13, v12
	v_sub_f16_e32 v10, v12, v13
	v_cmpx_ne_u32_e32 0, v3
	s_xor_b32 s5, exec_lo, s5
	s_cbranch_execz .LBB0_17
; %bb.16:
	v_mov_b32_e32 v4, 0
	v_add_f16_e32 v11, v13, v12
	v_sub_f16_e32 v12, v12, v13
	v_lshlrev_b64 v[7:8], 2, v[3:4]
	v_add_co_u32 v7, s0, s1, v7
	v_add_co_ci_u32_e64 v8, s0, s4, v8, s0
	global_load_dword v7, v[7:8], off
	ds_read_u16 v8, v9 offset:6050
	ds_read_u16 v10, v0 offset:2
	s_waitcnt lgkmcnt(0)
	v_add_f16_e32 v13, v8, v10
	v_sub_f16_e32 v8, v10, v8
	s_waitcnt vmcnt(0)
	v_lshrrev_b32_e32 v14, 16, v7
	v_fma_f16 v15, -v12, v14, v11
	v_fma_f16 v16, v13, v14, -v8
	v_fma_f16 v10, v13, v14, v8
	v_fma_f16 v11, v12, v14, v11
	v_fmac_f16_e32 v15, v7, v13
	v_fmac_f16_e32 v16, v12, v7
	;; [unrolled: 1-line block ×3, first 2 shown]
	v_fma_f16 v11, -v7, v13, v11
	v_mov_b32_e32 v8, v4
	v_mov_b32_e32 v7, v3
	v_pack_b32_f16 v12, v15, v16
	ds_write_b32 v9, v12 offset:6048
.LBB0_17:
	s_andn2_saveexec_b32 s0, s5
	s_cbranch_execz .LBB0_19
; %bb.18:
	v_mov_b32_e32 v4, 0
	ds_read_b32 v7, v4 offset:3024
	s_waitcnt lgkmcnt(0)
	v_pk_mul_f16 v12, 0xc0004000, v7
	v_mov_b32_e32 v7, 0
	v_mov_b32_e32 v8, 0
	ds_write_b32 v4, v12 offset:3024
.LBB0_19:
	s_or_b32 exec_lo, exec_lo, s0
	v_lshlrev_b64 v[7:8], 2, v[7:8]
	v_perm_b32 v10, v10, v11, 0x5040100
	v_add_nc_u32_e32 v37, 0xa00, v0
	v_add_nc_u32_e32 v38, 0xc00, v0
	;; [unrolled: 1-line block ×4, first 2 shown]
	v_add_co_u32 v7, s0, s1, v7
	v_add_co_ci_u32_e64 v8, s0, s4, v8, s0
	v_add_nc_u32_e32 v41, 0x400, v0
	v_add_nc_u32_e32 v40, 0x1000, v0
	v_add_nc_u32_e32 v29, 0x600, v0
	s_clause 0x6
	global_load_dword v4, v[7:8], off offset:252
	global_load_dword v12, v[7:8], off offset:504
	global_load_dword v13, v[7:8], off offset:756
	global_load_dword v14, v[7:8], off offset:1008
	global_load_dword v15, v[7:8], off offset:1260
	global_load_dword v16, v[7:8], off offset:1512
	global_load_dword v17, v[7:8], off offset:1764
	ds_write_b32 v0, v10
	ds_read_b32 v10, v0 offset:252
	ds_read_b32 v11, v9 offset:5796
	global_load_dword v18, v[7:8], off offset:2016
	v_add_co_u32 v7, s0, 0x800, v7
	v_add_co_ci_u32_e64 v8, s0, 0, v8, s0
	v_add_nc_u32_e32 v28, 0x1200, v0
	v_add_nc_u32_e32 v42, 0x800, v0
	;; [unrolled: 1-line block ×9, first 2 shown]
	v_lshl_add_u32 v36, v3, 2, v0
	v_and_b32_e32 v72, 1, v26
	v_lshl_add_u32 v60, v26, 3, 0
	v_lshl_add_u32 v61, v25, 3, 0
	;; [unrolled: 1-line block ×3, first 2 shown]
	s_waitcnt lgkmcnt(0)
	v_add_f16_e32 v19, v10, v11
	v_add_f16_sdwa v20, v11, v10 dst_sel:DWORD dst_unused:UNUSED_PAD src0_sel:WORD_1 src1_sel:WORD_1
	v_sub_f16_e32 v21, v10, v11
	v_sub_f16_sdwa v10, v10, v11 dst_sel:DWORD dst_unused:UNUSED_PAD src0_sel:WORD_1 src1_sel:WORD_1
	v_lshl_add_u32 v64, v32, 3, 0
	v_lshl_add_u32 v65, v30, 3, 0
	;; [unrolled: 1-line block ×3, first 2 shown]
	v_lshlrev_b32_e32 v76, 2, v72
	v_and_b32_e32 v78, 3, v25
	v_and_b32_e32 v80, 3, v26
	v_cmp_gt_u32_e64 s0, 9, v3
	v_lshlrev_b32_e32 v87, 2, v78
	v_lshlrev_b32_e32 v89, 2, v80
	s_waitcnt vmcnt(7)
	v_lshrrev_b32_e32 v22, 16, v4
	v_fma_f16 v11, v21, v22, v19
	v_fma_f16 v23, v20, v22, v10
	v_fma_f16 v19, -v21, v22, v19
	v_fma_f16 v10, v20, v22, -v10
	v_fma_f16 v11, -v4, v20, v11
	v_fmac_f16_e32 v23, v21, v4
	v_fmac_f16_e32 v19, v4, v20
	;; [unrolled: 1-line block ×3, first 2 shown]
	v_pack_b32_f16 v4, v11, v23
	s_waitcnt vmcnt(6)
	v_lshrrev_b32_e32 v11, 16, v12
	v_pack_b32_f16 v10, v19, v10
	ds_write_b32 v0, v4 offset:252
	ds_write_b32 v9, v10 offset:5796
	ds_read_b32 v4, v0 offset:504
	ds_read_b32 v10, v9 offset:5544
	s_waitcnt lgkmcnt(0)
	v_add_f16_e32 v19, v4, v10
	v_add_f16_sdwa v20, v10, v4 dst_sel:DWORD dst_unused:UNUSED_PAD src0_sel:WORD_1 src1_sel:WORD_1
	v_sub_f16_e32 v21, v4, v10
	v_sub_f16_sdwa v4, v4, v10 dst_sel:DWORD dst_unused:UNUSED_PAD src0_sel:WORD_1 src1_sel:WORD_1
	global_load_dword v10, v[7:8], off offset:220
	v_fma_f16 v22, v21, v11, v19
	v_fma_f16 v23, v20, v11, v4
	v_fma_f16 v19, -v21, v11, v19
	v_fma_f16 v4, v20, v11, -v4
	v_fma_f16 v11, -v12, v20, v22
	v_fmac_f16_e32 v23, v21, v12
	v_fmac_f16_e32 v19, v12, v20
	;; [unrolled: 1-line block ×3, first 2 shown]
	s_waitcnt vmcnt(6)
	v_lshrrev_b32_e32 v12, 16, v13
	v_pack_b32_f16 v11, v11, v23
	v_pack_b32_f16 v4, v19, v4
	ds_write_b32 v0, v11 offset:504
	ds_write_b32 v9, v4 offset:5544
	ds_read_b32 v4, v0 offset:756
	ds_read_b32 v11, v9 offset:5292
	s_waitcnt lgkmcnt(0)
	v_add_f16_e32 v19, v4, v11
	v_add_f16_sdwa v20, v11, v4 dst_sel:DWORD dst_unused:UNUSED_PAD src0_sel:WORD_1 src1_sel:WORD_1
	v_sub_f16_e32 v21, v4, v11
	v_sub_f16_sdwa v4, v4, v11 dst_sel:DWORD dst_unused:UNUSED_PAD src0_sel:WORD_1 src1_sel:WORD_1
	global_load_dword v11, v[7:8], off offset:472
	v_fma_f16 v22, v21, v12, v19
	v_fma_f16 v23, v20, v12, v4
	v_fma_f16 v19, -v21, v12, v19
	v_fma_f16 v4, v20, v12, -v4
	v_fma_f16 v12, -v13, v20, v22
	v_fmac_f16_e32 v23, v21, v13
	v_fmac_f16_e32 v19, v13, v20
	;; [unrolled: 1-line block ×3, first 2 shown]
	s_waitcnt vmcnt(6)
	v_lshrrev_b32_e32 v13, 16, v14
	v_pack_b32_f16 v12, v12, v23
	v_pack_b32_f16 v4, v19, v4
	ds_write_b32 v0, v12 offset:756
	ds_write_b32 v9, v4 offset:5292
	ds_read_b32 v4, v0 offset:1008
	ds_read_b32 v12, v9 offset:5040
	global_load_dword v7, v[7:8], off offset:724
	s_waitcnt lgkmcnt(0)
	v_add_f16_e32 v19, v4, v12
	v_add_f16_sdwa v20, v12, v4 dst_sel:DWORD dst_unused:UNUSED_PAD src0_sel:WORD_1 src1_sel:WORD_1
	v_sub_f16_e32 v21, v4, v12
	v_sub_f16_sdwa v4, v4, v12 dst_sel:DWORD dst_unused:UNUSED_PAD src0_sel:WORD_1 src1_sel:WORD_1
	v_fma_f16 v8, v21, v13, v19
	v_fma_f16 v12, v20, v13, v4
	v_fma_f16 v19, -v21, v13, v19
	v_fma_f16 v4, v20, v13, -v4
	v_fma_f16 v8, -v14, v20, v8
	v_fmac_f16_e32 v12, v21, v14
	v_fmac_f16_e32 v19, v14, v20
	;; [unrolled: 1-line block ×3, first 2 shown]
	v_pack_b32_f16 v8, v8, v12
	s_waitcnt vmcnt(6)
	v_lshrrev_b32_e32 v12, 16, v15
	v_pack_b32_f16 v4, v19, v4
	ds_write_b32 v0, v8 offset:1008
	ds_write_b32 v9, v4 offset:5040
	ds_read_b32 v4, v0 offset:1260
	ds_read_b32 v8, v9 offset:4788
	s_waitcnt lgkmcnt(0)
	v_add_f16_e32 v13, v4, v8
	v_add_f16_sdwa v14, v8, v4 dst_sel:DWORD dst_unused:UNUSED_PAD src0_sel:WORD_1 src1_sel:WORD_1
	v_sub_f16_e32 v19, v4, v8
	v_sub_f16_sdwa v4, v4, v8 dst_sel:DWORD dst_unused:UNUSED_PAD src0_sel:WORD_1 src1_sel:WORD_1
	v_fma_f16 v8, v19, v12, v13
	v_fma_f16 v20, v14, v12, v4
	v_fma_f16 v13, -v19, v12, v13
	v_fma_f16 v4, v14, v12, -v4
	s_waitcnt vmcnt(5)
	v_lshrrev_b32_e32 v12, 16, v16
	v_fma_f16 v8, -v15, v14, v8
	v_fmac_f16_e32 v20, v19, v15
	v_fmac_f16_e32 v13, v15, v14
	v_fmac_f16_e32 v4, v19, v15
	v_pack_b32_f16 v8, v8, v20
	v_pack_b32_f16 v4, v13, v4
	ds_write_b32 v0, v8 offset:1260
	ds_write_b32 v9, v4 offset:4788
	ds_read_b32 v4, v0 offset:1512
	ds_read_b32 v8, v9 offset:4536
	s_waitcnt lgkmcnt(0)
	v_add_f16_e32 v13, v4, v8
	v_add_f16_sdwa v14, v8, v4 dst_sel:DWORD dst_unused:UNUSED_PAD src0_sel:WORD_1 src1_sel:WORD_1
	v_sub_f16_e32 v15, v4, v8
	v_sub_f16_sdwa v4, v4, v8 dst_sel:DWORD dst_unused:UNUSED_PAD src0_sel:WORD_1 src1_sel:WORD_1
	v_fma_f16 v8, v15, v12, v13
	v_fma_f16 v19, v14, v12, v4
	v_fma_f16 v13, -v15, v12, v13
	v_fma_f16 v4, v14, v12, -v4
	s_waitcnt vmcnt(4)
	v_lshrrev_b32_e32 v12, 16, v17
	v_fma_f16 v8, -v16, v14, v8
	v_fmac_f16_e32 v19, v15, v16
	v_fmac_f16_e32 v13, v16, v14
	v_fmac_f16_e32 v4, v15, v16
	v_pack_b32_f16 v8, v8, v19
	;; [unrolled: 21-line block ×3, first 2 shown]
	v_pack_b32_f16 v4, v13, v4
	ds_write_b32 v0, v8 offset:1764
	ds_write_b32 v9, v4 offset:4284
	ds_read_b32 v4, v0 offset:2016
	ds_read_b32 v8, v9 offset:4032
	s_waitcnt lgkmcnt(0)
	v_add_f16_e32 v13, v4, v8
	v_add_f16_sdwa v14, v8, v4 dst_sel:DWORD dst_unused:UNUSED_PAD src0_sel:WORD_1 src1_sel:WORD_1
	v_sub_f16_e32 v15, v4, v8
	v_sub_f16_sdwa v4, v4, v8 dst_sel:DWORD dst_unused:UNUSED_PAD src0_sel:WORD_1 src1_sel:WORD_1
	v_fma_f16 v8, v15, v12, v13
	v_fma_f16 v16, v14, v12, v4
	v_fma_f16 v13, -v15, v12, v13
	v_fma_f16 v4, v14, v12, -v4
	v_fma_f16 v8, -v18, v14, v8
	v_fmac_f16_e32 v16, v15, v18
	v_fmac_f16_e32 v13, v18, v14
	;; [unrolled: 1-line block ×3, first 2 shown]
	v_pack_b32_f16 v8, v8, v16
	v_pack_b32_f16 v4, v13, v4
	ds_write_b32 v0, v8 offset:2016
	ds_write_b32 v9, v4 offset:4032
	ds_read_b32 v4, v0 offset:2268
	ds_read_b32 v8, v9 offset:3780
	s_waitcnt lgkmcnt(0)
	v_add_f16_e32 v13, v4, v8
	v_add_f16_sdwa v14, v8, v4 dst_sel:DWORD dst_unused:UNUSED_PAD src0_sel:WORD_1 src1_sel:WORD_1
	v_sub_f16_e32 v15, v4, v8
	v_sub_f16_sdwa v4, v4, v8 dst_sel:DWORD dst_unused:UNUSED_PAD src0_sel:WORD_1 src1_sel:WORD_1
	s_waitcnt vmcnt(2)
	v_lshrrev_b32_e32 v12, 16, v10
	v_fma_f16 v8, v15, v12, v13
	v_fma_f16 v16, v14, v12, v4
	v_fma_f16 v13, -v15, v12, v13
	v_fma_f16 v4, v14, v12, -v4
	v_fma_f16 v8, -v10, v14, v8
	v_fmac_f16_e32 v16, v15, v10
	v_fmac_f16_e32 v13, v10, v14
	;; [unrolled: 1-line block ×3, first 2 shown]
	v_pack_b32_f16 v8, v8, v16
	v_pack_b32_f16 v4, v13, v4
	ds_write_b32 v0, v8 offset:2268
	ds_write_b32 v9, v4 offset:3780
	ds_read_b32 v8, v0 offset:2520
	ds_read_b32 v10, v9 offset:3528
	v_add_nc_u32_e32 v4, 0xbd, v3
	v_lshl_add_u32 v62, v4, 3, 0
	s_waitcnt lgkmcnt(0)
	v_add_f16_e32 v13, v8, v10
	v_add_f16_sdwa v14, v10, v8 dst_sel:DWORD dst_unused:UNUSED_PAD src0_sel:WORD_1 src1_sel:WORD_1
	s_waitcnt vmcnt(1)
	v_lshrrev_b32_e32 v12, 16, v11
	v_sub_f16_e32 v15, v8, v10
	v_sub_f16_sdwa v8, v8, v10 dst_sel:DWORD dst_unused:UNUSED_PAD src0_sel:WORD_1 src1_sel:WORD_1
	v_fma_f16 v10, v15, v12, v13
	v_fma_f16 v16, v14, v12, v8
	v_fma_f16 v13, -v15, v12, v13
	v_fma_f16 v12, v14, v12, -v8
	v_add_nc_u32_e32 v8, 0x237, v3
	v_fma_f16 v17, -v11, v14, v10
	v_fmac_f16_e32 v16, v15, v11
	v_fmac_f16_e32 v13, v11, v14
	;; [unrolled: 1-line block ×3, first 2 shown]
	v_add_nc_u32_e32 v10, 0x1f8, v3
	v_add_nc_u32_e32 v11, 0x276, v3
	v_pack_b32_f16 v14, v17, v16
	v_lshl_add_u32 v68, v8, 3, 0
	v_pack_b32_f16 v13, v13, v12
	ds_write_b32 v0, v14 offset:2520
	ds_write_b32 v9, v13 offset:3528
	ds_read_b32 v14, v0 offset:2772
	ds_read_b32 v15, v9 offset:3276
	s_waitcnt vmcnt(0)
	v_lshrrev_b32_e32 v16, 16, v7
	v_add_nc_u32_e32 v12, 0x2b5, v3
	v_and_b32_e32 v13, 1, v3
	v_lshl_add_u32 v67, v10, 3, 0
	v_lshl_add_u32 v69, v11, 3, 0
	v_and_b32_e32 v79, 3, v8
	v_lshl_add_u32 v70, v12, 3, 0
	v_lshlrev_b32_e32 v71, 2, v13
	v_and_b32_e32 v77, 3, v12
	v_lshlrev_b32_e32 v88, 2, v79
	v_lshlrev_b32_e32 v86, 2, v77
	s_waitcnt lgkmcnt(0)
	v_add_f16_e32 v17, v14, v15
	v_add_f16_sdwa v18, v15, v14 dst_sel:DWORD dst_unused:UNUSED_PAD src0_sel:WORD_1 src1_sel:WORD_1
	v_sub_f16_e32 v19, v14, v15
	v_sub_f16_sdwa v14, v14, v15 dst_sel:DWORD dst_unused:UNUSED_PAD src0_sel:WORD_1 src1_sel:WORD_1
	v_fma_f16 v15, v19, v16, v17
	v_fma_f16 v20, v18, v16, v14
	v_fma_f16 v17, -v19, v16, v17
	v_fma_f16 v21, v18, v16, -v14
	v_and_b32_e32 v14, 1, v4
	v_fma_f16 v22, -v7, v18, v15
	v_fmac_f16_e32 v20, v19, v7
	v_fmac_f16_e32 v17, v7, v18
	;; [unrolled: 1-line block ×3, first 2 shown]
	v_and_b32_e32 v18, 1, v12
	v_and_b32_e32 v16, 1, v31
	v_pack_b32_f16 v7, v22, v20
	v_and_b32_e32 v15, 1, v32
	v_pack_b32_f16 v19, v17, v21
	ds_write_b32 v0, v7 offset:2772
	ds_write_b32 v9, v19 offset:3276
	s_waitcnt lgkmcnt(0)
	s_barrier
	buffer_gl0_inv
	s_barrier
	buffer_gl0_inv
	ds_read2_b32 v[19:20], v0 offset1:63
	ds_read2_b32 v[21:22], v37 offset0:116 offset1:179
	ds_read2_b32 v[23:24], v0 offset0:126 offset1:189
	;; [unrolled: 1-line block ×11, first 2 shown]
	v_and_b32_e32 v17, 1, v8
	v_lshlrev_b32_e32 v75, 2, v18
	v_lshlrev_b32_e32 v7, 2, v14
	;; [unrolled: 1-line block ×5, first 2 shown]
	s_waitcnt lgkmcnt(0)
	s_barrier
	buffer_gl0_inv
	v_pk_add_f16 v21, v19, v21 neg_lo:[0,1] neg_hi:[0,1]
	v_pk_add_f16 v22, v20, v22 neg_lo:[0,1] neg_hi:[0,1]
	;; [unrolled: 1-line block ×12, first 2 shown]
	v_pk_fma_f16 v19, v19, 2.0, v21 op_sel_hi:[1,0,1] neg_lo:[0,0,1] neg_hi:[0,0,1]
	v_pk_fma_f16 v20, v20, 2.0, v22 op_sel_hi:[1,0,1] neg_lo:[0,0,1] neg_hi:[0,0,1]
	v_pk_fma_f16 v23, v23, 2.0, v34 op_sel_hi:[1,0,1] neg_lo:[0,0,1] neg_hi:[0,0,1]
	v_pk_fma_f16 v24, v24, 2.0, v35 op_sel_hi:[1,0,1] neg_lo:[0,0,1] neg_hi:[0,0,1]
	v_pk_fma_f16 v44, v44, 2.0, v46 op_sel_hi:[1,0,1] neg_lo:[0,0,1] neg_hi:[0,0,1]
	v_pk_fma_f16 v52, v52, 2.0, v54 op_sel_hi:[1,0,1] neg_lo:[0,0,1] neg_hi:[0,0,1]
	v_pk_fma_f16 v53, v53, 2.0, v55 op_sel_hi:[1,0,1] neg_lo:[0,0,1] neg_hi:[0,0,1]
	v_pk_fma_f16 v56, v56, 2.0, v58 op_sel_hi:[1,0,1] neg_lo:[0,0,1] neg_hi:[0,0,1]
	v_pk_fma_f16 v57, v57, 2.0, v59 op_sel_hi:[1,0,1] neg_lo:[0,0,1] neg_hi:[0,0,1]
	v_pk_fma_f16 v45, v45, 2.0, v47 op_sel_hi:[1,0,1] neg_lo:[0,0,1] neg_hi:[0,0,1]
	v_pk_fma_f16 v48, v48, 2.0, v50 op_sel_hi:[1,0,1] neg_lo:[0,0,1] neg_hi:[0,0,1]
	v_pk_fma_f16 v49, v49, 2.0, v51 op_sel_hi:[1,0,1] neg_lo:[0,0,1] neg_hi:[0,0,1]
	ds_write2_b32 v36, v19, v21 offset1:1
	ds_write2_b32 v60, v20, v22 offset1:1
	;; [unrolled: 1-line block ×12, first 2 shown]
	s_waitcnt lgkmcnt(0)
	s_barrier
	buffer_gl0_inv
	s_clause 0xb
	global_load_ushort v24, v75, s[12:13] offset:2
	global_load_ushort v36, v74, s[12:13] offset:2
	;; [unrolled: 1-line block ×4, first 2 shown]
	global_load_dword v52, v71, s[12:13]
	global_load_ushort v53, v9, s[12:13] offset:2
	global_load_ushort v54, v73, s[12:13]
	global_load_dword v55, v76, s[12:13]
	global_load_ushort v56, v9, s[12:13]
	global_load_ushort v57, v7, s[12:13]
	;; [unrolled: 1-line block ×4, first 2 shown]
	v_lshlrev_b32_e32 v7, 1, v3
	v_lshlrev_b32_e32 v61, 1, v26
	;; [unrolled: 1-line block ×5, first 2 shown]
	v_and_or_b32 v9, 0x7c, v7, v13
	v_lshlrev_b32_e32 v65, 1, v32
	v_lshlrev_b32_e32 v66, 1, v30
	;; [unrolled: 1-line block ×7, first 2 shown]
	v_and_b32_e32 v75, 3, v11
	v_lshl_add_u32 v82, v9, 2, 0
	v_and_or_b32 v8, 0xfc, v61, v72
	v_and_or_b32 v9, 0x1fc, v62, v13
	;; [unrolled: 1-line block ×11, first 2 shown]
	v_lshl_add_u32 v90, v8, 2, 0
	v_lshl_add_u32 v91, v9, 2, 0
	;; [unrolled: 1-line block ×6, first 2 shown]
	ds_read2_b32 v[8:9], v43 offset0:106 offset1:169
	ds_read2_b32 v[10:11], v28 offset0:108 offset1:171
	;; [unrolled: 1-line block ×4, first 2 shown]
	v_lshl_add_u32 v96, v16, 2, 0
	ds_read2_b32 v[16:17], v39 offset0:112 offset1:175
	v_lshl_add_u32 v97, v19, 2, 0
	v_lshl_add_u32 v98, v20, 2, 0
	;; [unrolled: 1-line block ×4, first 2 shown]
	ds_read2_b32 v[18:19], v37 offset0:116 offset1:179
	ds_read2_b32 v[20:21], v0 offset1:63
	ds_read2_b32 v[22:23], v0 offset0:126 offset1:189
	ds_read2_b32 v[34:35], v27 offset0:124 offset1:187
	;; [unrolled: 1-line block ×5, first 2 shown]
	v_and_b32_e32 v74, 3, v31
	v_and_b32_e32 v73, 3, v30
	;; [unrolled: 1-line block ×4, first 2 shown]
	s_waitcnt vmcnt(0) lgkmcnt(0)
	v_lshlrev_b32_e32 v83, 2, v74
	s_barrier
	buffer_gl0_inv
	v_lshlrev_b32_e32 v72, 2, v73
	v_lshlrev_b32_e32 v84, 2, v75
	;; [unrolled: 1-line block ×4, first 2 shown]
	v_pk_mul_f16 v24, v9, v24 op_sel_hi:[1,0]
	v_pk_mul_f16 v36, v11, v36 op_sel_hi:[1,0]
	;; [unrolled: 1-line block ×4, first 2 shown]
	v_pk_mul_f16 v102, v8, v52 op_sel:[0,1]
	v_pk_mul_f16 v107, v52, v18 op_sel:[0,1]
	;; [unrolled: 1-line block ×4, first 2 shown]
	v_pk_mul_f16 v53, v17, v53 op_sel_hi:[1,0]
	v_pk_mul_f16 v105, v16, v52 op_sel:[0,1]
	v_pk_mul_f16 v103, v10, v52 op_sel:[0,1]
	;; [unrolled: 1-line block ×3, first 2 shown]
	v_pk_fma_f16 v108, v13, v57, v50 op_sel:[0,0,1] op_sel_hi:[1,1,0]
	v_pk_fma_f16 v13, v13, v57, v50 op_sel:[0,0,1] op_sel_hi:[1,0,0] neg_lo:[0,0,1] neg_hi:[0,0,1]
	v_pk_fma_f16 v57, v9, v58, v24 op_sel:[0,0,1] op_sel_hi:[1,1,0]
	v_pk_fma_f16 v9, v9, v58, v24 op_sel:[0,0,1] op_sel_hi:[1,0,0] neg_lo:[0,0,1] neg_hi:[0,0,1]
	;; [unrolled: 2-line block ×12, first 2 shown]
	v_bfi_b32 v18, 0xffff, v102, v18
	v_bfi_b32 v19, 0xffff, v101, v19
	;; [unrolled: 1-line block ×12, first 2 shown]
	v_pk_add_f16 v18, v20, v18 neg_lo:[0,1] neg_hi:[0,1]
	v_pk_add_f16 v19, v21, v19 neg_lo:[0,1] neg_hi:[0,1]
	;; [unrolled: 1-line block ×12, first 2 shown]
	v_pk_fma_f16 v20, v20, 2.0, v18 op_sel_hi:[1,0,1] neg_lo:[0,0,1] neg_hi:[0,0,1]
	v_pk_fma_f16 v21, v21, 2.0, v19 op_sel_hi:[1,0,1] neg_lo:[0,0,1] neg_hi:[0,0,1]
	;; [unrolled: 1-line block ×12, first 2 shown]
	ds_write2_b32 v82, v20, v18 offset1:2
	ds_write2_b32 v90, v21, v19 offset1:2
	;; [unrolled: 1-line block ×12, first 2 shown]
	v_and_b32_e32 v8, 3, v4
	s_waitcnt lgkmcnt(0)
	s_barrier
	buffer_gl0_inv
	s_clause 0xa
	global_load_ushort v36, v83, s[12:13] offset:10
	global_load_ushort v44, v72, s[12:13] offset:10
	;; [unrolled: 1-line block ×5, first 2 shown]
	global_load_dword v55, v86, s[12:13] offset:8
	global_load_dword v56, v87, s[12:13] offset:8
	;; [unrolled: 1-line block ×4, first 2 shown]
	global_load_ushort v59, v88, s[12:13] offset:10
	global_load_ushort v81, v85, s[12:13] offset:10
	v_lshlrev_b32_e32 v9, 2, v8
	s_clause 0x4
	global_load_ushort v82, v88, s[12:13] offset:8
	global_load_ushort v83, v83, s[12:13] offset:8
	;; [unrolled: 1-line block ×5, first 2 shown]
	v_and_or_b32 v9, 0x78, v7, v60
	v_and_or_b32 v10, 0xf8, v61, v80
	v_and_or_b32 v11, 0x1f8, v62, v78
	v_and_or_b32 v8, 0x1f8, v63, v8
	v_and_or_b32 v12, 0x2f8, v65, v76
	v_and_or_b32 v13, 0x3f8, v66, v73
	v_and_or_b32 v14, 0x3f8, v67, v74
	v_and_or_b32 v15, 0x4f8, v69, v79
	v_and_or_b32 v16, 0x5f8, v70, v75
	v_and_or_b32 v17, 0x3f8, v64, v60
	v_and_or_b32 v19, 0x7f8, v68, v60
	v_lshl_add_u32 v60, v9, 2, 0
	v_lshl_add_u32 v61, v10, 2, 0
	;; [unrolled: 1-line block ×6, first 2 shown]
	ds_read2_b32 v[8:9], v40 offset0:110 offset1:173
	v_lshl_add_u32 v67, v14, 2, 0
	ds_read2_b32 v[10:11], v43 offset0:106 offset1:169
	ds_read2_b32 v[12:13], v38 offset0:114 offset1:177
	v_lshl_add_u32 v69, v15, 2, 0
	ds_read2_b32 v[14:15], v37 offset0:116 offset1:179
	v_lshl_add_u32 v64, v17, 2, 0
	v_lshl_add_u32 v70, v16, 2, 0
	ds_read2_b32 v[16:17], v28 offset0:108 offset1:171
	v_and_or_b32 v18, 0x5f8, v71, v77
	v_lshl_add_u32 v68, v19, 2, 0
	v_and_b32_e32 v24, 7, v3
	v_and_b32_e32 v45, 7, v26
	v_lshl_add_u32 v71, v18, 2, 0
	ds_read2_b32 v[18:19], v39 offset0:112 offset1:175
	ds_read2_b32 v[20:21], v0 offset0:126 offset1:189
	;; [unrolled: 1-line block ×6, first 2 shown]
	ds_read2_b32 v[50:51], v0 offset1:63
	v_lshlrev_b32_e32 v86, 3, v24
	s_waitcnt vmcnt(0) lgkmcnt(0)
	s_barrier
	buffer_gl0_inv
	v_pk_mul_f16 v36, v9, v36 op_sel_hi:[1,0]
	v_pk_mul_f16 v44, v8, v44 op_sel_hi:[1,0]
	;; [unrolled: 1-line block ×4, first 2 shown]
	v_pk_mul_f16 v73, v13, v55 op_sel:[0,1]
	v_pk_mul_f16 v74, v56, v12 op_sel:[0,1]
	;; [unrolled: 1-line block ×4, first 2 shown]
	v_pk_mul_f16 v59, v17, v59 op_sel_hi:[1,0]
	v_pk_mul_f16 v77, v16, v58 op_sel:[0,1]
	v_pk_mul_f16 v78, v19, v81 op_sel_hi:[1,0]
	v_pk_mul_f16 v79, v18, v58 op_sel:[0,1]
	v_pk_fma_f16 v80, v9, v83, v36 op_sel:[0,0,1] op_sel_hi:[1,1,0]
	v_pk_fma_f16 v9, v9, v83, v36 op_sel:[0,0,1] op_sel_hi:[1,0,0] neg_lo:[0,0,1] neg_hi:[0,0,1]
	v_pk_fma_f16 v36, v8, v72, v44 op_sel:[0,0,1] op_sel_hi:[1,1,0]
	v_pk_fma_f16 v8, v8, v72, v44 op_sel:[0,0,1] op_sel_hi:[1,0,0] neg_lo:[0,0,1] neg_hi:[0,0,1]
	;; [unrolled: 2-line block ×12, first 2 shown]
	v_bfi_b32 v14, 0xffff, v57, v14
	v_bfi_b32 v15, 0xffff, v56, v15
	;; [unrolled: 1-line block ×12, first 2 shown]
	v_pk_add_f16 v14, v50, v14 neg_lo:[0,1] neg_hi:[0,1]
	v_pk_add_f16 v15, v51, v15 neg_lo:[0,1] neg_hi:[0,1]
	;; [unrolled: 1-line block ×12, first 2 shown]
	v_pk_fma_f16 v44, v50, 2.0, v14 op_sel_hi:[1,0,1] neg_lo:[0,0,1] neg_hi:[0,0,1]
	v_pk_fma_f16 v36, v51, 2.0, v15 op_sel_hi:[1,0,1] neg_lo:[0,0,1] neg_hi:[0,0,1]
	;; [unrolled: 1-line block ×12, first 2 shown]
	ds_write2_b32 v60, v44, v14 offset1:4
	ds_write2_b32 v61, v36, v15 offset1:4
	;; [unrolled: 1-line block ×12, first 2 shown]
	s_waitcnt lgkmcnt(0)
	s_barrier
	buffer_gl0_inv
	global_load_dwordx2 v[8:9], v86, s[12:13] offset:24
	v_lshlrev_b32_e32 v10, 3, v45
	v_and_b32_e32 v46, 7, v25
	v_and_b32_e32 v47, 7, v4
	;; [unrolled: 1-line block ×4, first 2 shown]
	global_load_dwordx2 v[10:11], v10, s[12:13] offset:24
	v_lshlrev_b32_e32 v12, 3, v46
	v_and_b32_e32 v50, 7, v30
	v_lshlrev_b32_e32 v14, 3, v47
	v_lshlrev_b32_e32 v16, 3, v48
	;; [unrolled: 1-line block ×3, first 2 shown]
	global_load_dwordx2 v[12:13], v12, s[12:13] offset:24
	v_lshlrev_b32_e32 v20, 3, v50
	s_clause 0x1
	global_load_dwordx2 v[14:15], v14, s[12:13] offset:24
	global_load_dwordx2 v[16:17], v16, s[12:13] offset:24
	v_and_b32_e32 v51, 7, v31
	s_clause 0x1
	global_load_dwordx2 v[18:19], v18, s[12:13] offset:24
	global_load_dwordx2 v[22:23], v20, s[12:13] offset:24
	v_lshrrev_b32_e32 v35, 3, v3
	v_and_b32_e32 v36, 0xff, v3
	v_lshlrev_b32_e32 v20, 3, v51
	v_lshrrev_b32_e32 v52, 3, v26
	v_lshrrev_b32_e32 v53, 3, v25
	v_mul_u32_u24_e32 v44, 24, v35
	v_lshrrev_b32_e32 v54, 3, v4
	global_load_dwordx2 v[20:21], v20, s[12:13] offset:24
	v_lshrrev_b32_e32 v56, 3, v32
	v_lshrrev_b32_e32 v57, 3, v30
	v_mul_lo_u16 v59, 0xab, v36
	v_lshrrev_b32_e32 v55, 3, v33
	v_lshrrev_b32_e32 v58, 3, v31
	v_or_b32_e32 v24, v44, v24
	v_mul_u32_u24_e32 v52, 24, v52
	v_mul_u32_u24_e32 v53, 24, v53
	;; [unrolled: 1-line block ×5, first 2 shown]
	v_lshrrev_b16 v44, 12, v59
	v_mul_u32_u24_e32 v55, 24, v55
	v_mul_u32_u24_e32 v58, 24, v58
	v_or_b32_e32 v45, v52, v45
	v_or_b32_e32 v52, v53, v46
	;; [unrolled: 1-line block ×5, first 2 shown]
	v_mul_lo_u16 v50, v44, 24
	v_and_b32_e32 v60, 0xff, v26
	v_and_b32_e32 v35, 0xff, v25
	v_or_b32_e32 v53, v55, v48
	v_or_b32_e32 v57, v58, v51
	v_lshl_add_u32 v74, v45, 2, 0
	v_lshl_add_u32 v75, v52, 2, 0
	;; [unrolled: 1-line block ×3, first 2 shown]
	v_sub_nc_u16 v45, v3, v50
	ds_read2_b32 v[49:50], v29 offset0:120 offset1:183
	ds_read2_b32 v[51:52], v39 offset0:112 offset1:175
	v_mul_lo_u16 v59, 0xab, v60
	v_mul_lo_u16 v60, 0xab, v35
	v_lshl_add_u32 v77, v53, 2, 0
	v_lshl_add_u32 v79, v54, 2, 0
	ds_read2_b32 v[53:54], v42 offset0:118 offset1:181
	ds_read2_b32 v[55:56], v40 offset0:110 offset1:173
	v_lshrrev_b16 v46, 12, v59
	v_lshrrev_b16 v48, 12, v60
	v_lshl_add_u32 v80, v57, 2, 0
	ds_read2_b32 v[57:58], v37 offset0:116 offset1:179
	ds_read2_b32 v[59:60], v28 offset0:108 offset1:171
	;; [unrolled: 1-line block ×4, first 2 shown]
	ds_read2_b32 v[65:66], v0 offset1:63
	ds_read2_b32 v[67:68], v0 offset0:126 offset1:189
	ds_read2_b32 v[69:70], v27 offset0:124 offset1:187
	;; [unrolled: 1-line block ×3, first 2 shown]
	v_lshl_add_u32 v24, v24, 2, 0
	v_lshl_add_u32 v76, v47, 2, 0
	s_waitcnt vmcnt(0) lgkmcnt(0)
	s_barrier
	buffer_gl0_inv
	v_and_b32_e32 v36, 0xff, v4
	v_mov_b32_e32 v34, 3
	v_mul_lo_u16 v47, v46, 24
	v_lshrrev_b32_e32 v82, 16, v49
	v_lshrrev_b32_e32 v83, 16, v51
	;; [unrolled: 1-line block ×4, first 2 shown]
	v_mul_lo_u16 v73, 0xab, v36
	v_lshrrev_b32_e32 v86, 16, v53
	v_lshrrev_b32_e32 v87, 16, v55
	;; [unrolled: 1-line block ×20, first 2 shown]
	v_lshlrev_b32_sdwa v81, v34, v45 dst_sel:DWORD dst_unused:UNUSED_PAD src0_sel:DWORD src1_sel:BYTE_0
	v_sub_nc_u16 v47, v26, v47
	v_mul_f16_sdwa v105, v8, v49 dst_sel:DWORD dst_unused:UNUSED_PAD src0_sel:WORD_1 src1_sel:DWORD
	v_mul_f16_sdwa v107, v9, v51 dst_sel:DWORD dst_unused:UNUSED_PAD src0_sel:WORD_1 src1_sel:DWORD
	;; [unrolled: 1-line block ×4, first 2 shown]
	v_fma_f16 v82, v8, v82, -v105
	v_mul_f16_sdwa v105, v10, v84 dst_sel:DWORD dst_unused:UNUSED_PAD src0_sel:WORD_1 src1_sel:DWORD
	v_fma_f16 v83, v9, v83, -v107
	v_mul_f16_sdwa v107, v85, v11 dst_sel:DWORD dst_unused:UNUSED_PAD src0_sel:DWORD src1_sel:WORD_1
	v_fmac_f16_e32 v108, v8, v49
	v_fmac_f16_e32 v109, v9, v51
	v_mul_f16_sdwa v8, v10, v50 dst_sel:DWORD dst_unused:UNUSED_PAD src0_sel:WORD_1 src1_sel:DWORD
	v_mul_f16_sdwa v9, v52, v11 dst_sel:DWORD dst_unused:UNUSED_PAD src0_sel:DWORD src1_sel:WORD_1
	v_fmac_f16_e32 v105, v10, v50
	v_mul_f16_sdwa v49, v53, v12 dst_sel:DWORD dst_unused:UNUSED_PAD src0_sel:DWORD src1_sel:WORD_1
	v_mul_f16_sdwa v50, v55, v13 dst_sel:DWORD dst_unused:UNUSED_PAD src0_sel:DWORD src1_sel:WORD_1
	v_fmac_f16_e32 v107, v52, v11
	v_mul_f16_sdwa v51, v86, v12 dst_sel:DWORD dst_unused:UNUSED_PAD src0_sel:DWORD src1_sel:WORD_1
	v_mul_f16_sdwa v52, v87, v13 dst_sel:DWORD dst_unused:UNUSED_PAD src0_sel:DWORD src1_sel:WORD_1
	v_fma_f16 v8, v10, v84, -v8
	v_mul_f16_sdwa v10, v88, v14 dst_sel:DWORD dst_unused:UNUSED_PAD src0_sel:DWORD src1_sel:WORD_1
	v_fma_f16 v9, v85, v11, -v9
	;; [unrolled: 2-line block ×4, first 2 shown]
	v_mul_f16_sdwa v87, v90, v16 dst_sel:DWORD dst_unused:UNUSED_PAD src0_sel:DWORD src1_sel:WORD_1
	v_fmac_f16_e32 v51, v53, v12
	v_fmac_f16_e32 v52, v55, v13
	v_mul_f16_sdwa v12, v59, v17 dst_sel:DWORD dst_unused:UNUSED_PAD src0_sel:DWORD src1_sel:WORD_1
	v_mul_f16_sdwa v13, v91, v17 dst_sel:DWORD dst_unused:UNUSED_PAD src0_sel:DWORD src1_sel:WORD_1
	;; [unrolled: 1-line block ×6, first 2 shown]
	v_fmac_f16_e32 v10, v54, v14
	v_mul_f16_sdwa v54, v58, v18 dst_sel:DWORD dst_unused:UNUSED_PAD src0_sel:DWORD src1_sel:WORD_1
	v_fmac_f16_e32 v11, v56, v15
	v_mul_f16_sdwa v56, v60, v19 dst_sel:DWORD dst_unused:UNUSED_PAD src0_sel:DWORD src1_sel:WORD_1
	v_fma_f16 v86, v90, v16, -v86
	v_mul_f16_sdwa v90, v96, v20 dst_sel:DWORD dst_unused:UNUSED_PAD src0_sel:DWORD src1_sel:WORD_1
	v_fma_f16 v12, v91, v17, -v12
	v_fmac_f16_e32 v87, v57, v16
	v_fmac_f16_e32 v13, v59, v17
	v_mul_f16_sdwa v16, v97, v21 dst_sel:DWORD dst_unused:UNUSED_PAD src0_sel:DWORD src1_sel:WORD_1
	v_mul_f16_sdwa v17, v64, v21 dst_sel:DWORD dst_unused:UNUSED_PAD src0_sel:DWORD src1_sel:WORD_1
	v_fma_f16 v14, v88, v14, -v84
	v_mul_f16_sdwa v84, v61, v22 dst_sel:DWORD dst_unused:UNUSED_PAD src0_sel:DWORD src1_sel:WORD_1
	v_fmac_f16_e32 v53, v58, v18
	v_fmac_f16_e32 v55, v60, v19
	v_fma_f16 v15, v89, v15, -v85
	v_mul_f16_sdwa v85, v94, v22 dst_sel:DWORD dst_unused:UNUSED_PAD src0_sel:DWORD src1_sel:WORD_1
	v_mul_f16_sdwa v88, v63, v23 dst_sel:DWORD dst_unused:UNUSED_PAD src0_sel:DWORD src1_sel:WORD_1
	;; [unrolled: 1-line block ×4, first 2 shown]
	v_fma_f16 v18, v92, v18, -v54
	v_fma_f16 v19, v93, v19, -v56
	v_fmac_f16_e32 v90, v62, v20
	v_fmac_f16_e32 v16, v64, v21
	v_fma_f16 v17, v97, v21, -v17
	v_add_f16_e32 v21, v105, v107
	v_fma_f16 v54, v94, v22, -v84
	v_add_f16_e32 v94, v53, v55
	v_fma_f16 v56, v95, v23, -v88
	v_fmac_f16_e32 v85, v61, v22
	v_fmac_f16_e32 v89, v63, v23
	v_fma_f16 v20, v96, v20, -v91
	v_add_f16_e32 v22, v66, v105
	v_add_f16_e32 v23, v8, v9
	;; [unrolled: 1-line block ×7, first 2 shown]
	v_fmac_f16_e32 v66, -0.5, v21
	v_add_f16_e32 v21, v90, v16
	v_add_f16_e32 v88, v14, v15
	;; [unrolled: 1-line block ×4, first 2 shown]
	v_fmac_f16_e32 v70, -0.5, v94
	v_add_f16_e32 v94, v49, v50
	v_add_f16_e32 v57, v98, v8
	v_sub_f16_e32 v8, v8, v9
	v_sub_f16_e32 v58, v105, v107
	;; [unrolled: 1-line block ×4, first 2 shown]
	v_add_f16_e32 v82, v10, v11
	v_add_f16_e32 v97, v102, v18
	;; [unrolled: 1-line block ×4, first 2 shown]
	v_fmac_f16_e32 v98, -0.5, v23
	v_add_f16_e32 v23, v72, v90
	v_add_f16_e32 v60, v60, v109
	v_add_f16_e32 v109, v20, v17
	v_add_f16_e32 v62, v62, v83
	v_fmac_f16_e32 v99, -0.5, v63
	v_add_f16_e32 v63, v85, v89
	v_fmac_f16_e32 v102, -0.5, v96
	v_add_f16_e32 v96, v103, v86
	;; [unrolled: 2-line block ×3, first 2 shown]
	v_add_f16_e32 v22, v22, v107
	v_add_f16_e32 v107, v54, v56
	v_fma_f16 v59, -0.5, v59, v65
	v_add_f16_e32 v83, v104, v20
	v_add_f16_e32 v91, v100, v14
	;; [unrolled: 1-line block ×3, first 2 shown]
	v_sub_f16_e32 v51, v51, v52
	v_fmac_f16_e32 v100, -0.5, v88
	v_add_f16_e32 v88, v101, v49
	v_sub_f16_e32 v49, v49, v50
	v_fma_f16 v65, -0.5, v92, v67
	v_fmac_f16_e32 v101, -0.5, v94
	v_add_f16_e32 v84, v68, v10
	v_sub_f16_e32 v14, v14, v15
	v_sub_f16_e32 v10, v10, v11
	;; [unrolled: 1-line block ×6, first 2 shown]
	v_fmac_f16_e32 v68, -0.5, v82
	v_add_f16_e32 v82, v71, v85
	v_sub_f16_e32 v87, v87, v13
	v_sub_f16_e32 v86, v86, v12
	;; [unrolled: 1-line block ×3, first 2 shown]
	v_fmac_f16_e32 v104, -0.5, v109
	v_add_f16_e32 v109, v106, v54
	v_sub_f16_e32 v54, v54, v56
	v_fma_f16 v67, -0.5, v105, v69
	v_fma_f16 v63, -0.5, v63, v71
	v_add_f16_e32 v9, v57, v9
	v_add_f16_e32 v13, v108, v13
	;; [unrolled: 1-line block ×3, first 2 shown]
	v_fmac_f16_e32 v103, -0.5, v21
	v_add_f16_e32 v21, v95, v55
	v_add_f16_e32 v19, v97, v19
	v_fmac_f16_e32 v106, -0.5, v107
	v_add_f16_e32 v16, v23, v16
	v_fmamk_f16 v23, v8, 0xbaee, v66
	v_fmac_f16_e32 v66, 0x3aee, v8
	v_fmamk_f16 v8, v58, 0x3aee, v98
	v_fmac_f16_e32 v98, 0xbaee, v58
	v_pack_b32_f16 v57, v60, v62
	v_fmamk_f16 v58, v64, 0xbaee, v59
	v_fmamk_f16 v60, v61, 0x3aee, v99
	v_fmac_f16_e32 v59, 0x3aee, v64
	v_fmac_f16_e32 v99, 0xbaee, v61
	v_add_f16_e32 v17, v83, v17
	v_add_f16_e32 v52, v93, v52
	;; [unrolled: 1-line block ×3, first 2 shown]
	v_fmamk_f16 v62, v49, 0xbaee, v65
	v_fmac_f16_e32 v65, 0x3aee, v49
	v_fmamk_f16 v49, v51, 0x3aee, v101
	v_add_f16_e32 v11, v84, v11
	v_add_f16_e32 v15, v91, v15
	;; [unrolled: 1-line block ×4, first 2 shown]
	v_fmamk_f16 v61, v14, 0xbaee, v68
	v_fmac_f16_e32 v68, 0x3aee, v14
	v_fmamk_f16 v14, v10, 0x3aee, v100
	v_fmac_f16_e32 v100, 0xbaee, v10
	;; [unrolled: 2-line block ×6, first 2 shown]
	v_fmac_f16_e32 v101, 0xbaee, v51
	v_fmamk_f16 v51, v86, 0xbaee, v67
	v_fmac_f16_e32 v67, 0x3aee, v86
	v_fmamk_f16 v64, v87, 0x3aee, v103
	;; [unrolled: 2-line block ×4, first 2 shown]
	v_fmac_f16_e32 v106, 0xbaee, v85
	v_pack_b32_f16 v12, v13, v12
	v_pack_b32_f16 v13, v21, v19
	;; [unrolled: 1-line block ×23, first 2 shown]
	ds_write2_b32 v24, v57, v19 offset1:8
	ds_write_b32 v24, v21 offset:64
	ds_write2_b32 v74, v9, v8 offset1:8
	ds_write_b32 v74, v17 offset:64
	;; [unrolled: 2-line block ×8, first 2 shown]
	v_mov_b32_e32 v8, 0xaaab
	v_mul_lo_u16 v11, v48, 24
	v_lshrrev_b16 v50, 12, v73
	s_waitcnt lgkmcnt(0)
	s_barrier
	v_mul_u32_u24_sdwa v13, v33, v8 dst_sel:DWORD dst_unused:UNUSED_PAD src0_sel:WORD_0 src1_sel:DWORD
	v_mul_u32_u24_sdwa v15, v32, v8 dst_sel:DWORD dst_unused:UNUSED_PAD src0_sel:WORD_0 src1_sel:DWORD
	;; [unrolled: 1-line block ×3, first 2 shown]
	buffer_gl0_inv
	global_load_dwordx2 v[9:10], v81, s[12:13] offset:88
	v_lshrrev_b32_e32 v52, 20, v13
	v_lshrrev_b32_e32 v53, 20, v15
	v_lshlrev_b32_sdwa v12, v34, v47 dst_sel:DWORD dst_unused:UNUSED_PAD src0_sel:DWORD src1_sel:BYTE_0
	v_sub_nc_u16 v49, v25, v11
	v_mul_lo_u16 v14, v50, 24
	v_mul_lo_u16 v15, v52, 24
	v_lshrrev_b32_e32 v57, 20, v16
	v_mul_u32_u24_sdwa v8, v31, v8 dst_sel:DWORD dst_unused:UNUSED_PAD src0_sel:WORD_0 src1_sel:DWORD
	global_load_dwordx2 v[11:12], v12, s[12:13] offset:88
	v_lshlrev_b32_sdwa v13, v34, v49 dst_sel:DWORD dst_unused:UNUSED_PAD src0_sel:DWORD src1_sel:BYTE_0
	v_sub_nc_u16 v54, v33, v15
	v_mul_lo_u16 v15, v53, 24
	v_sub_nc_u16 v51, v4, v14
	v_lshrrev_b32_e32 v60, 20, v8
	global_load_dwordx2 v[13:14], v13, s[12:13] offset:88
	v_lshlrev_b32_sdwa v16, v34, v54 dst_sel:DWORD dst_unused:UNUSED_PAD src0_sel:DWORD src1_sel:WORD_0
	v_sub_nc_u16 v55, v32, v15
	v_mul_lo_u16 v15, v57, 24
	v_lshlrev_b32_sdwa v17, v34, v51 dst_sel:DWORD dst_unused:UNUSED_PAD src0_sel:DWORD src1_sel:BYTE_0
	v_add_nc_u32_e32 v61, -9, v3
	global_load_dwordx2 v[21:22], v16, s[12:13] offset:88
	v_lshlrev_b32_sdwa v8, v34, v55 dst_sel:DWORD dst_unused:UNUSED_PAD src0_sel:DWORD src1_sel:WORD_0
	v_sub_nc_u16 v56, v30, v15
	global_load_dwordx2 v[23:24], v17, s[12:13] offset:88
	v_mul_lo_u16 v15, v60, 24
	v_mov_b32_e32 v62, 0xe38f
	global_load_dwordx2 v[19:20], v8, s[12:13] offset:88
	v_lshlrev_b32_sdwa v8, v34, v56 dst_sel:DWORD dst_unused:UNUSED_PAD src0_sel:DWORD src1_sel:WORD_0
	v_cndmask_b32_e64 v61, v61, v26, s0
	v_sub_nc_u16 v58, v31, v15
	v_mul_u32_u24_sdwa v66, v32, v62 dst_sel:DWORD dst_unused:UNUSED_PAD src0_sel:WORD_0 src1_sel:DWORD
	v_mul_u32_u24_sdwa v67, v30, v62 dst_sel:DWORD dst_unused:UNUSED_PAD src0_sel:WORD_0 src1_sel:DWORD
	global_load_dwordx2 v[17:18], v8, s[12:13] offset:88
	v_mul_lo_u16 v69, v35, 57
	v_lshlrev_b32_sdwa v8, v34, v58 dst_sel:DWORD dst_unused:UNUSED_PAD src0_sel:DWORD src1_sel:WORD_0
	v_mov_b32_e32 v65, 0x120
	v_mov_b32_e32 v59, 2
	v_mul_u32_u24_sdwa v26, v33, v62 dst_sel:DWORD dst_unused:UNUSED_PAD src0_sel:WORD_0 src1_sel:DWORD
	v_mul_u32_u24_sdwa v68, v31, v62 dst_sel:DWORD dst_unused:UNUSED_PAD src0_sel:WORD_0 src1_sel:DWORD
	global_load_dwordx2 v[15:16], v8, s[12:13] offset:88
	v_mov_b32_e32 v8, 0
	v_mul_lo_u16 v70, v36, 57
	v_lshrrev_b32_e32 v36, 22, v66
	v_lshrrev_b32_e32 v62, 22, v67
	v_mul_u32_u24_e32 v66, 0x120, v52
	v_lshlrev_b64 v[63:64], 2, v[7:8]
	v_lshlrev_b32_e32 v7, 1, v61
	v_mul_u32_u24_e32 v67, 0x120, v53
	v_lshrrev_b32_e32 v35, 22, v26
	v_lshrrev_b32_e32 v77, 22, v68
	v_mul_u32_u24_sdwa v26, v44, v65 dst_sel:DWORD dst_unused:UNUSED_PAD src0_sel:WORD_0 src1_sel:DWORD
	v_lshlrev_b64 v[52:53], 2, v[7:8]
	v_lshrrev_b16 v7, 12, v69
	v_mul_u32_u24_sdwa v68, v46, v65 dst_sel:DWORD dst_unused:UNUSED_PAD src0_sel:WORD_0 src1_sel:DWORD
	v_mul_u32_u24_sdwa v69, v48, v65 dst_sel:DWORD dst_unused:UNUSED_PAD src0_sel:WORD_0 src1_sel:DWORD
	;; [unrolled: 1-line block ×3, first 2 shown]
	v_lshlrev_b32_sdwa v48, v59, v45 dst_sel:DWORD dst_unused:UNUSED_PAD src0_sel:DWORD src1_sel:BYTE_0
	v_mul_lo_u16 v46, 0x48, v7
	v_lshlrev_b32_sdwa v50, v59, v54 dst_sel:DWORD dst_unused:UNUSED_PAD src0_sel:DWORD src1_sel:WORD_0
	v_lshlrev_b32_sdwa v54, v59, v55 dst_sel:DWORD dst_unused:UNUSED_PAD src0_sel:DWORD src1_sel:WORD_0
	v_lshlrev_b32_sdwa v55, v59, v56 dst_sel:DWORD dst_unused:UNUSED_PAD src0_sel:DWORD src1_sel:WORD_0
	v_lshlrev_b32_sdwa v56, v59, v58 dst_sel:DWORD dst_unused:UNUSED_PAD src0_sel:DWORD src1_sel:WORD_0
	v_sub_nc_u16 v45, v25, v46
	v_add3_u32 v58, 0, v26, v48
	v_add3_u32 v80, 0, v67, v54
	v_lshlrev_b32_sdwa v54, v59, v47 dst_sel:DWORD dst_unused:UNUSED_PAD src0_sel:DWORD src1_sel:BYTE_0
	ds_read2_b32 v[25:26], v29 offset0:120 offset1:183
	ds_read2_b32 v[46:47], v39 offset0:112 offset1:175
	v_mul_u32_u24_e32 v57, 0x120, v57
	v_mul_u32_u24_e32 v60, 0x120, v60
	v_add3_u32 v79, 0, v66, v50
	v_lshlrev_b32_sdwa v66, v59, v51 dst_sel:DWORD dst_unused:UNUSED_PAD src0_sel:DWORD src1_sel:BYTE_0
	v_add3_u32 v82, 0, v68, v54
	v_add3_u32 v81, 0, v57, v55
	v_lshlrev_b32_sdwa v55, v59, v49 dst_sel:DWORD dst_unused:UNUSED_PAD src0_sel:DWORD src1_sel:BYTE_0
	ds_read2_b32 v[48:49], v42 offset0:118 offset1:181
	ds_read2_b32 v[50:51], v40 offset0:110 offset1:173
	v_add3_u32 v60, 0, v60, v56
	v_lshrrev_b16 v44, 12, v70
	v_add3_u32 v84, 0, v65, v66
	v_add3_u32 v83, 0, v69, v55
	ds_read2_b32 v[54:55], v37 offset0:116 offset1:179
	ds_read2_b32 v[56:57], v28 offset0:108 offset1:171
	ds_read2_b32 v[65:66], v38 offset0:114 offset1:177
	ds_read2_b32 v[67:68], v43 offset0:106 offset1:169
	ds_read2_b32 v[69:70], v0 offset1:63
	ds_read2_b32 v[71:72], v0 offset0:126 offset1:189
	ds_read2_b32 v[73:74], v27 offset0:124 offset1:187
	;; [unrolled: 1-line block ×3, first 2 shown]
	s_waitcnt vmcnt(0) lgkmcnt(0)
	s_barrier
	buffer_gl0_inv
	v_mul_lo_u16 v78, 0x48, v44
	v_lshrrev_b32_e32 v85, 16, v25
	v_lshrrev_b32_e32 v86, 16, v46
	;; [unrolled: 1-line block ×4, first 2 shown]
	v_add_co_u32 v63, s0, s12, v63
	v_add_co_ci_u32_e64 v64, s0, s13, v64, s0
	v_lshrrev_b32_e32 v89, 16, v48
	v_lshrrev_b32_e32 v90, 16, v50
	;; [unrolled: 1-line block ×17, first 2 shown]
	v_add_co_u32 v52, s0, s12, v52
	v_add_co_ci_u32_e64 v53, s0, s13, v53, s0
	v_cmp_lt_u32_e64 s0, 8, v3
	v_mul_f16_sdwa v107, v10, v46 dst_sel:DWORD dst_unused:UNUSED_PAD src0_sel:WORD_1 src1_sel:DWORD
	v_mul_f16_sdwa v108, v9, v85 dst_sel:DWORD dst_unused:UNUSED_PAD src0_sel:WORD_1 src1_sel:DWORD
	v_mul_f16_sdwa v105, v9, v25 dst_sel:DWORD dst_unused:UNUSED_PAD src0_sel:WORD_1 src1_sel:DWORD
	v_mul_f16_sdwa v109, v10, v86 dst_sel:DWORD dst_unused:UNUSED_PAD src0_sel:WORD_1 src1_sel:DWORD
	v_fma_f16 v86, v10, v86, -v107
	v_fmac_f16_e32 v108, v9, v25
	v_fma_f16 v85, v9, v85, -v105
	v_fmac_f16_e32 v109, v10, v46
	v_mul_f16_sdwa v107, v11, v87 dst_sel:DWORD dst_unused:UNUSED_PAD src0_sel:WORD_1 src1_sel:DWORD
	v_mul_f16_sdwa v25, v11, v26 dst_sel:DWORD dst_unused:UNUSED_PAD src0_sel:WORD_1 src1_sel:DWORD
	v_mul_f16_sdwa v9, v88, v12 dst_sel:DWORD dst_unused:UNUSED_PAD src0_sel:DWORD src1_sel:WORD_1
	v_lshrrev_b32_e32 v10, 16, v76
	v_lshrrev_b32_e32 v105, 16, v73
	v_fmac_f16_e32 v107, v11, v26
	v_mul_f16_sdwa v26, v47, v12 dst_sel:DWORD dst_unused:UNUSED_PAD src0_sel:DWORD src1_sel:WORD_1
	v_fma_f16 v11, v11, v87, -v25
	v_mul_f16_sdwa v25, v50, v14 dst_sel:DWORD dst_unused:UNUSED_PAD src0_sel:DWORD src1_sel:WORD_1
	v_fmac_f16_e32 v9, v47, v12
	v_mul_f16_sdwa v47, v48, v13 dst_sel:DWORD dst_unused:UNUSED_PAD src0_sel:DWORD src1_sel:WORD_1
	v_fma_f16 v12, v88, v12, -v26
	v_mul_f16_sdwa v26, v89, v13 dst_sel:DWORD dst_unused:UNUSED_PAD src0_sel:DWORD src1_sel:WORD_1
	v_mul_f16_sdwa v87, v90, v14 dst_sel:DWORD dst_unused:UNUSED_PAD src0_sel:DWORD src1_sel:WORD_1
	v_fma_f16 v25, v90, v14, -v25
	v_mul_f16_sdwa v88, v91, v23 dst_sel:DWORD dst_unused:UNUSED_PAD src0_sel:DWORD src1_sel:WORD_1
	;; [unrolled: 3-line block ×3, first 2 shown]
	v_fmac_f16_e32 v26, v48, v13
	v_fmac_f16_e32 v87, v50, v14
	v_mul_f16_sdwa v13, v51, v24 dst_sel:DWORD dst_unused:UNUSED_PAD src0_sel:DWORD src1_sel:WORD_1
	v_fmac_f16_e32 v88, v49, v23
	v_mul_f16_sdwa v48, v93, v21 dst_sel:DWORD dst_unused:UNUSED_PAD src0_sel:DWORD src1_sel:WORD_1
	v_mul_f16_sdwa v49, v56, v22 dst_sel:DWORD dst_unused:UNUSED_PAD src0_sel:DWORD src1_sel:WORD_1
	v_fmac_f16_e32 v90, v51, v24
	v_mul_f16_sdwa v50, v94, v22 dst_sel:DWORD dst_unused:UNUSED_PAD src0_sel:DWORD src1_sel:WORD_1
	v_mul_f16_sdwa v51, v95, v19 dst_sel:DWORD dst_unused:UNUSED_PAD src0_sel:DWORD src1_sel:WORD_1
	;; [unrolled: 1-line block ×3, first 2 shown]
	v_fma_f16 v23, v91, v23, -v89
	v_mul_f16_sdwa v89, v55, v19 dst_sel:DWORD dst_unused:UNUSED_PAD src0_sel:DWORD src1_sel:WORD_1
	v_fma_f16 v13, v92, v24, -v13
	v_mul_f16_sdwa v24, v96, v20 dst_sel:DWORD dst_unused:UNUSED_PAD src0_sel:DWORD src1_sel:WORD_1
	v_mul_f16_sdwa v92, v65, v17 dst_sel:DWORD dst_unused:UNUSED_PAD src0_sel:DWORD src1_sel:WORD_1
	v_fma_f16 v49, v94, v22, -v49
	v_fmac_f16_e32 v48, v54, v21
	v_fmac_f16_e32 v50, v56, v22
	v_mul_f16_sdwa v22, v99, v15 dst_sel:DWORD dst_unused:UNUSED_PAD src0_sel:DWORD src1_sel:WORD_1
	v_fmac_f16_e32 v51, v55, v19
	v_mul_f16_sdwa v54, v66, v15 dst_sel:DWORD dst_unused:UNUSED_PAD src0_sel:DWORD src1_sel:WORD_1
	v_mul_f16_sdwa v55, v100, v16 dst_sel:DWORD dst_unused:UNUSED_PAD src0_sel:DWORD src1_sel:WORD_1
	;; [unrolled: 1-line block ×5, first 2 shown]
	v_fmac_f16_e32 v24, v57, v20
	v_fma_f16 v57, v97, v17, -v92
	v_fmac_f16_e32 v22, v66, v15
	v_fmac_f16_e32 v55, v68, v16
	v_fma_f16 v15, v99, v15, -v54
	v_fma_f16 v16, v100, v16, -v56
	v_add_f16_e32 v92, v23, v13
	v_fma_f16 v14, v93, v21, -v14
	v_mul_f16_sdwa v21, v98, v18 dst_sel:DWORD dst_unused:UNUSED_PAD src0_sel:DWORD src1_sel:WORD_1
	v_mul_f16_sdwa v93, v97, v17 dst_sel:DWORD dst_unused:UNUSED_PAD src0_sel:DWORD src1_sel:WORD_1
	v_fma_f16 v19, v95, v19, -v89
	v_fma_f16 v89, v98, v18, -v94
	v_add_f16_e32 v94, v103, v23
	v_add_f16_e32 v97, v51, v24
	v_fmac_f16_e32 v103, -0.5, v92
	v_add_f16_e32 v92, v15, v16
	v_fmac_f16_e32 v21, v67, v18
	v_add_f16_e32 v67, v69, v108
	v_fma_f16 v20, v96, v20, -v91
	v_add_f16_e32 v54, v11, v12
	v_add_f16_e32 v98, v74, v51
	v_fmac_f16_e32 v74, -0.5, v97
	v_add_f16_e32 v97, v10, v15
	v_fmac_f16_e32 v10, -0.5, v92
	v_add_f16_e32 v92, v102, v85
	v_add_f16_e32 v66, v108, v109
	v_sub_f16_e32 v108, v108, v109
	v_add_f16_e32 v67, v67, v109
	v_add_f16_e32 v109, v85, v86
	v_fmac_f16_e32 v93, v65, v17
	v_add_f16_e32 v17, v107, v9
	v_add_f16_e32 v56, v101, v11
	;; [unrolled: 1-line block ×4, first 2 shown]
	v_fmac_f16_e32 v101, -0.5, v54
	v_add_f16_e32 v54, v22, v55
	v_sub_f16_e32 v85, v85, v86
	v_add_f16_e32 v86, v92, v86
	v_add_f16_e32 v92, v104, v47
	v_lshrrev_b32_e32 v46, 16, v75
	v_add_f16_e32 v18, v70, v107
	v_add_f16_e32 v96, v71, v26
	v_add_f16_e32 v95, v26, v87
	v_fmac_f16_e32 v102, -0.5, v109
	v_add_f16_e32 v109, v47, v25
	v_sub_f16_e32 v11, v11, v12
	v_sub_f16_e32 v65, v107, v9
	v_add_f16_e32 v91, v72, v88
	v_add_f16_e32 v100, v106, v19
	v_sub_f16_e32 v19, v19, v20
	v_sub_f16_e32 v51, v51, v24
	v_add_f16_e32 v107, v48, v50
	v_fmac_f16_e32 v70, -0.5, v17
	v_fmac_f16_e32 v72, -0.5, v68
	v_add_f16_e32 v68, v76, v22
	v_sub_f16_e32 v15, v15, v16
	v_sub_f16_e32 v22, v22, v55
	v_fmac_f16_e32 v106, -0.5, v99
	v_add_f16_e32 v99, v93, v21
	v_fmac_f16_e32 v76, -0.5, v54
	v_add_f16_e32 v54, v75, v93
	v_sub_f16_e32 v47, v47, v25
	v_add_f16_e32 v12, v56, v12
	v_add_f16_e32 v56, v14, v49
	;; [unrolled: 1-line block ×4, first 2 shown]
	v_fma_f16 v66, -0.5, v66, v69
	v_add_f16_e32 v17, v73, v48
	v_sub_f16_e32 v26, v26, v87
	v_add_f16_e32 v9, v18, v9
	v_add_f16_e32 v18, v105, v14
	;; [unrolled: 1-line block ×4, first 2 shown]
	v_fma_f16 v69, -0.5, v95, v71
	v_fmac_f16_e32 v104, -0.5, v109
	v_sub_f16_e32 v23, v23, v13
	v_sub_f16_e32 v88, v88, v90
	;; [unrolled: 1-line block ×6, first 2 shown]
	v_fma_f16 v71, -0.5, v107, v73
	v_fma_f16 v73, -0.5, v99, v75
	v_fmac_f16_e32 v105, -0.5, v56
	v_add_f16_e32 v21, v54, v21
	v_fmac_f16_e32 v46, -0.5, v92
	v_fmamk_f16 v54, v11, 0xbaee, v70
	v_fmac_f16_e32 v70, 0x3aee, v11
	v_fmamk_f16 v11, v65, 0x3aee, v101
	v_fmac_f16_e32 v101, 0xbaee, v65
	;; [unrolled: 2-line block ×6, first 2 shown]
	v_fmamk_f16 v22, v85, 0xbaee, v66
	v_fmamk_f16 v65, v108, 0x3aee, v102
	v_add_f16_e32 v17, v17, v50
	v_add_f16_e32 v18, v18, v49
	v_add_f16_e32 v24, v98, v24
	v_add_f16_e32 v20, v100, v20
	v_add_f16_e32 v49, v96, v89
	v_fmac_f16_e32 v66, 0x3aee, v85
	v_fmac_f16_e32 v102, 0xbaee, v108
	v_add_f16_e32 v50, v68, v55
	v_fmamk_f16 v68, v47, 0xbaee, v69
	v_fmac_f16_e32 v69, 0x3aee, v47
	v_fmamk_f16 v47, v26, 0x3aee, v104
	v_add_f16_e32 v75, v91, v90
	v_add_f16_e32 v13, v94, v13
	;; [unrolled: 1-line block ×3, first 2 shown]
	v_fmamk_f16 v55, v23, 0xbaee, v72
	v_fmac_f16_e32 v72, 0x3aee, v23
	v_fmamk_f16 v23, v88, 0x3aee, v103
	v_fmac_f16_e32 v103, 0xbaee, v88
	v_fmac_f16_e32 v104, 0xbaee, v26
	v_fmamk_f16 v26, v14, 0xbaee, v71
	v_fmac_f16_e32 v71, 0x3aee, v14
	v_fmamk_f16 v14, v48, 0x3aee, v105
	;; [unrolled: 2-line block ×4, first 2 shown]
	v_fmac_f16_e32 v46, 0xbaee, v93
	v_pack_b32_f16 v67, v67, v86
	v_pack_b32_f16 v22, v22, v65
	;; [unrolled: 1-line block ×24, first 2 shown]
	ds_write2_b32 v58, v67, v22 offset1:24
	ds_write_b32 v58, v49 offset:192
	ds_write2_b32 v82, v9, v11 offset1:24
	ds_write_b32 v82, v21 offset:192
	;; [unrolled: 2-line block ×8, first 2 shown]
	v_mul_lo_u16 v9, 0x48, v35
	v_mul_lo_u16 v12, 0x48, v36
	v_lshlrev_b32_sdwa v11, v34, v45 dst_sel:DWORD dst_unused:UNUSED_PAD src0_sel:DWORD src1_sel:BYTE_0
	s_waitcnt lgkmcnt(0)
	s_barrier
	v_sub_nc_u16 v9, v33, v9
	v_sub_nc_u16 v32, v32, v12
	buffer_gl0_inv
	v_sub_nc_u16 v10, v4, v78
	global_load_dwordx2 v[19:20], v11, s[12:13] offset:280
	v_lshlrev_b32_sdwa v12, v34, v9 dst_sel:DWORD dst_unused:UNUSED_PAD src0_sel:DWORD src1_sel:WORD_0
	s_clause 0x1
	global_load_dwordx2 v[25:26], v[63:64], off offset:280
	global_load_dwordx2 v[17:18], v[52:53], off offset:280
	v_lshlrev_b32_sdwa v13, v34, v10 dst_sel:DWORD dst_unused:UNUSED_PAD src0_sel:DWORD src1_sel:BYTE_0
	v_lshlrev_b32_e32 v33, 2, v61
	global_load_dwordx2 v[23:24], v12, s[12:13] offset:280
	v_mul_lo_u16 v11, 0x48, v62
	v_mov_b32_e32 v46, 0x360
	global_load_dwordx2 v[21:22], v13, s[12:13] offset:280
	v_lshlrev_b32_sdwa v9, v59, v9 dst_sel:DWORD dst_unused:UNUSED_PAD src0_sel:DWORD src1_sel:WORD_0
	v_lshlrev_b32_sdwa v47, v59, v45 dst_sel:DWORD dst_unused:UNUSED_PAD src0_sel:DWORD src1_sel:BYTE_0
	v_sub_nc_u16 v30, v30, v11
	v_lshlrev_b32_sdwa v11, v34, v32 dst_sel:DWORD dst_unused:UNUSED_PAD src0_sel:DWORD src1_sel:WORD_0
	v_lshlrev_b32_sdwa v32, v59, v32 dst_sel:DWORD dst_unused:UNUSED_PAD src0_sel:DWORD src1_sel:WORD_0
	v_mul_u32_u24_sdwa v7, v7, v46 dst_sel:DWORD dst_unused:UNUSED_PAD src0_sel:WORD_0 src1_sel:DWORD
	v_lshlrev_b32_sdwa v10, v59, v10 dst_sel:DWORD dst_unused:UNUSED_PAD src0_sel:DWORD src1_sel:BYTE_0
	global_load_dwordx2 v[15:16], v11, s[12:13] offset:280
	v_mul_lo_u16 v13, 0x48, v77
	v_lshlrev_b32_sdwa v11, v34, v30 dst_sel:DWORD dst_unused:UNUSED_PAD src0_sel:DWORD src1_sel:WORD_0
	v_add3_u32 v7, 0, v7, v47
	v_sub_nc_u16 v12, v31, v13
	global_load_dwordx2 v[13:14], v11, s[12:13] offset:280
	v_cndmask_b32_e64 v31, 0, 0x360, s0
	v_cmp_gt_u32_e64 s0, 27, v3
	v_and_b32_e32 v34, 0xffff, v12
	v_add3_u32 v60, 0, v31, v33
	v_mul_u32_u24_e32 v31, 0x360, v35
	v_mul_u32_u24_e32 v33, 0x360, v36
	v_lshlrev_b32_e32 v11, 3, v34
	v_mul_u32_u24_e32 v35, 0x360, v62
	v_mul_u32_u24_sdwa v36, v44, v46 dst_sel:DWORD dst_unused:UNUSED_PAD src0_sel:WORD_0 src1_sel:DWORD
	v_lshlrev_b32_sdwa v44, v59, v30 dst_sel:DWORD dst_unused:UNUSED_PAD src0_sel:DWORD src1_sel:WORD_0
	v_add3_u32 v59, 0, v31, v9
	global_load_dwordx2 v[11:12], v11, s[12:13] offset:280
	v_add3_u32 v61, 0, v33, v32
	ds_read2_b32 v[30:31], v39 offset0:112 offset1:175
	ds_read2_b32 v[32:33], v29 offset0:120 offset1:183
	v_add3_u32 v62, 0, v35, v44
	v_lshl_add_u32 v63, v34, 2, 0
	ds_read2_b32 v[34:35], v42 offset0:118 offset1:181
	ds_read2_b32 v[45:46], v40 offset0:110 offset1:173
	;; [unrolled: 1-line block ×4, first 2 shown]
	v_add3_u32 v36, 0, v36, v10
	ds_read2_b32 v[49:50], v38 offset0:114 offset1:177
	ds_read2_b32 v[51:52], v43 offset0:106 offset1:169
	ds_read2_b32 v[53:54], v0 offset1:63
	ds_read2_b32 v[55:56], v0 offset0:126 offset1:189
	ds_read2_b32 v[57:58], v27 offset0:124 offset1:187
	;; [unrolled: 1-line block ×3, first 2 shown]
	v_add_nc_u32_e32 v64, 0x1400, v63
	s_waitcnt vmcnt(0) lgkmcnt(0)
	s_barrier
	buffer_gl0_inv
	v_lshrrev_b32_e32 v27, 16, v31
	v_lshrrev_b32_e32 v65, 16, v32
	;; [unrolled: 1-line block ×24, first 2 shown]
	v_mul_f16_sdwa v95, v34, v19 dst_sel:DWORD dst_unused:UNUSED_PAD src0_sel:DWORD src1_sel:WORD_1
	v_mul_f16_sdwa v96, v45, v20 dst_sel:DWORD dst_unused:UNUSED_PAD src0_sel:DWORD src1_sel:WORD_1
	v_mul_f16_sdwa v87, v25, v32 dst_sel:DWORD dst_unused:UNUSED_PAD src0_sel:WORD_1 src1_sel:DWORD
	v_mul_f16_sdwa v88, v26, v30 dst_sel:DWORD dst_unused:UNUSED_PAD src0_sel:WORD_1 src1_sel:DWORD
	;; [unrolled: 1-line block ×5, first 2 shown]
	v_mul_f16_sdwa v92, v27, v18 dst_sel:DWORD dst_unused:UNUSED_PAD src0_sel:DWORD src1_sel:WORD_1
	v_mul_f16_sdwa v93, v17, v33 dst_sel:DWORD dst_unused:UNUSED_PAD src0_sel:WORD_1 src1_sel:DWORD
	v_mul_f16_sdwa v94, v31, v18 dst_sel:DWORD dst_unused:UNUSED_PAD src0_sel:DWORD src1_sel:WORD_1
	v_mul_f16_sdwa v97, v68, v19 dst_sel:DWORD dst_unused:UNUSED_PAD src0_sel:DWORD src1_sel:WORD_1
	;; [unrolled: 1-line block ×14, first 2 shown]
	v_fma_f16 v65, v25, v65, -v87
	v_mul_f16_sdwa v87, v29, v16 dst_sel:DWORD dst_unused:UNUSED_PAD src0_sel:DWORD src1_sel:WORD_1
	v_fma_f16 v66, v26, v66, -v88
	v_mul_f16_sdwa v88, v49, v13 dst_sel:DWORD dst_unused:UNUSED_PAD src0_sel:DWORD src1_sel:WORD_1
	v_fmac_f16_e32 v89, v25, v32
	v_fmac_f16_e32 v90, v26, v30
	v_mul_f16_sdwa v25, v76, v13 dst_sel:DWORD dst_unused:UNUSED_PAD src0_sel:DWORD src1_sel:WORD_1
	v_mul_f16_sdwa v26, v51, v14 dst_sel:DWORD dst_unused:UNUSED_PAD src0_sel:DWORD src1_sel:WORD_1
	v_fmac_f16_e32 v91, v17, v33
	v_mul_f16_sdwa v30, v77, v14 dst_sel:DWORD dst_unused:UNUSED_PAD src0_sel:DWORD src1_sel:WORD_1
	v_fmac_f16_e32 v92, v31, v18
	v_fma_f16 v17, v17, v67, -v93
	v_fma_f16 v18, v27, v18, -v94
	;; [unrolled: 1-line block ×4, first 2 shown]
	v_fmac_f16_e32 v97, v34, v19
	v_mul_f16_sdwa v32, v78, v11 dst_sel:DWORD dst_unused:UNUSED_PAD src0_sel:DWORD src1_sel:WORD_1
	v_mul_f16_sdwa v31, v79, v12 dst_sel:DWORD dst_unused:UNUSED_PAD src0_sel:DWORD src1_sel:WORD_1
	;; [unrolled: 1-line block ×4, first 2 shown]
	v_fmac_f16_e32 v98, v45, v20
	v_fmac_f16_e32 v99, v35, v21
	;; [unrolled: 1-line block ×3, first 2 shown]
	v_fma_f16 v19, v70, v21, -v100
	v_fma_f16 v20, v71, v22, -v102
	;; [unrolled: 1-line block ×4, first 2 shown]
	v_fmac_f16_e32 v105, v47, v23
	v_fmac_f16_e32 v106, v28, v24
	;; [unrolled: 1-line block ×3, first 2 shown]
	v_fma_f16 v15, v74, v15, -v108
	v_fmac_f16_e32 v109, v29, v16
	v_fma_f16 v16, v75, v16, -v87
	v_fma_f16 v23, v76, v13, -v88
	v_fma_f16 v24, v77, v14, -v26
	v_fmac_f16_e32 v25, v49, v13
	v_fmac_f16_e32 v30, v51, v14
	;; [unrolled: 1-line block ×4, first 2 shown]
	v_fma_f16 v11, v78, v11, -v33
	v_fma_f16 v12, v79, v12, -v67
	v_add_f16_e32 v13, v91, v92
	v_add_f16_e32 v26, v17, v18
	;; [unrolled: 1-line block ×5, first 2 shown]
	v_sub_f16_e32 v34, v91, v92
	v_add_f16_e32 v45, v81, v65
	v_sub_f16_e32 v47, v65, v66
	v_add_f16_e32 v49, v97, v98
	v_add_f16_e32 v52, v27, v68
	;; [unrolled: 1-line block ×4, first 2 shown]
	v_sub_f16_e32 v69, v99, v101
	v_add_f16_e32 v71, v19, v20
	v_add_f16_e32 v73, v105, v106
	;; [unrolled: 1-line block ×10, first 2 shown]
	v_sub_f16_e32 v29, v17, v18
	v_add_f16_e32 v17, v80, v17
	v_sub_f16_e32 v35, v89, v90
	v_add_f16_e32 v96, v10, v32
	v_fmac_f16_e32 v54, -0.5, v13
	v_fmac_f16_e32 v80, -0.5, v26
	;; [unrolled: 1-line block ×3, first 2 shown]
	v_fma_f16 v26, -0.5, v33, v53
	v_add_f16_e32 v48, v55, v97
	v_sub_f16_e32 v50, v97, v98
	v_add_f16_e32 v51, v82, v27
	v_sub_f16_e32 v27, v27, v68
	v_add_f16_e32 v70, v83, v19
	v_sub_f16_e32 v19, v19, v20
	v_add_f16_e32 v72, v57, v105
	v_sub_f16_e32 v74, v105, v106
	v_add_f16_e32 v75, v84, v21
	v_sub_f16_e32 v21, v21, v22
	v_add_f16_e32 v77, v58, v107
	v_sub_f16_e32 v79, v107, v109
	v_add_f16_e32 v87, v85, v15
	v_sub_f16_e32 v15, v15, v16
	v_add_f16_e32 v89, v9, v25
	v_sub_f16_e32 v25, v25, v30
	v_add_f16_e32 v93, v86, v23
	v_sub_f16_e32 v23, v23, v24
	v_add_f16_e32 v97, v44, v11
	v_sub_f16_e32 v100, v11, v12
	v_sub_f16_e32 v32, v32, v31
	v_fmac_f16_e32 v82, -0.5, v52
	v_fmac_f16_e32 v56, -0.5, v67
	;; [unrolled: 1-line block ×9, first 2 shown]
	v_fma_f16 v49, -0.5, v49, v55
	v_fma_f16 v52, -0.5, v73, v57
	;; [unrolled: 1-line block ×3, first 2 shown]
	v_add_f16_e32 v13, v14, v90
	v_add_f16_e32 v14, v45, v66
	;; [unrolled: 1-line block ×5, first 2 shown]
	v_fmamk_f16 v31, v29, 0xbaee, v54
	v_fmac_f16_e32 v54, 0x3aee, v29
	v_fmamk_f16 v29, v34, 0x3aee, v80
	v_fmac_f16_e32 v80, 0xbaee, v34
	;; [unrolled: 2-line block ×4, first 2 shown]
	v_add_f16_e32 v18, v48, v98
	v_add_f16_e32 v33, v51, v68
	;; [unrolled: 1-line block ×9, first 2 shown]
	v_fmamk_f16 v35, v27, 0xbaee, v49
	v_fmac_f16_e32 v49, 0x3aee, v27
	v_fmamk_f16 v27, v50, 0x3aee, v82
	v_fmac_f16_e32 v82, 0xbaee, v50
	;; [unrolled: 2-line block ×10, first 2 shown]
	v_fmamk_f16 v12, v100, 0xbaee, v10
	v_fmamk_f16 v9, v32, 0x3aee, v44
	v_add_f16_e32 v51, v77, v109
	v_add_f16_e32 v16, v87, v16
	v_fmac_f16_e32 v10, 0x3aee, v100
	v_fmac_f16_e32 v44, 0xbaee, v32
	v_pack_b32_f16 v13, v13, v14
	v_pack_b32_f16 v14, v28, v17
	;; [unrolled: 1-line block ×24, first 2 shown]
	ds_write2_b32 v0, v13, v28 offset1:72
	ds_write_b32 v0, v26 offset:576
	ds_write2_b32 v60, v14, v29 offset1:72
	ds_write_b32 v60, v25 offset:576
	;; [unrolled: 2-line block ×7, first 2 shown]
	ds_write2_b32 v64, v24, v35 offset0:16 offset1:88
	ds_write_b32 v63, v46 offset:5760
	s_waitcnt lgkmcnt(0)
	s_barrier
	buffer_gl0_inv
	ds_read2_b32 v[19:20], v0 offset1:63
	ds_read2_b32 v[17:18], v0 offset0:126 offset1:216
	ds_read2_b32 v[33:34], v41 offset0:176 offset1:239
	;; [unrolled: 1-line block ×9, first 2 shown]
	ds_read_b32 v7, v0 offset:5688
                                        ; implicit-def: $vgpr46
                                        ; implicit-def: $vgpr13
                                        ; implicit-def: $vgpr48
                                        ; implicit-def: $vgpr49
                                        ; implicit-def: $vgpr47
                                        ; implicit-def: $vgpr50
                                        ; implicit-def: $vgpr16
	s_and_saveexec_b32 s1, s0
	s_cbranch_execz .LBB0_21
; %bb.20:
	v_add_nc_u32_e32 v9, 0x280, v0
	v_add_nc_u32_e32 v10, 0x980, v0
	ds_read2_b32 v[13:14], v40 offset0:29 offset1:245
	ds_read_b32 v49, v0 offset:5940
	ds_read2_b32 v[11:12], v9 offset0:29 offset1:245
	ds_read2_b32 v[15:16], v10 offset0:13 offset1:229
	s_waitcnt lgkmcnt(3)
	v_lshrrev_b32_e32 v46, 16, v13
	v_lshrrev_b32_e32 v47, 16, v14
	s_waitcnt lgkmcnt(2)
	v_lshrrev_b32_e32 v48, 16, v49
	s_waitcnt lgkmcnt(1)
	v_lshrrev_b32_e32 v45, 16, v11
	v_lshrrev_b32_e32 v9, 16, v12
	s_waitcnt lgkmcnt(0)
	v_lshrrev_b32_e32 v44, 16, v15
	v_lshrrev_b32_e32 v50, 16, v16
	v_mov_b32_e32 v10, v15
.LBB0_21:
	s_or_b32 exec_lo, exec_lo, s1
	v_mul_u32_u24_e32 v15, 6, v3
	s_waitcnt lgkmcnt(4)
	v_lshrrev_b32_e32 v80, 16, v31
	v_lshrrev_b32_e32 v81, 16, v24
	;; [unrolled: 1-line block ×4, first 2 shown]
	v_lshlrev_b32_e32 v15, 2, v15
	v_lshrrev_b32_e32 v84, 16, v18
	v_lshrrev_b32_e32 v85, 16, v33
	;; [unrolled: 1-line block ×3, first 2 shown]
	s_waitcnt lgkmcnt(1)
	v_lshrrev_b32_e32 v70, 16, v25
	s_clause 0x1
	global_load_dwordx4 v[51:54], v15, s[12:13] offset:856
	global_load_dwordx2 v[63:64], v15, s[12:13] offset:872
	v_add_co_u32 v15, s1, s12, v15
	v_add_co_ci_u32_e64 v61, null, s13, 0, s1
	v_lshrrev_b32_e32 v71, 16, v32
	v_add_co_u32 v59, s1, 0x5e8, v15
	v_add_co_ci_u32_e64 v60, s1, 0, v61, s1
	v_add_co_u32 v65, s1, 0xbd0, v15
	v_add_co_ci_u32_e64 v66, s1, 0, v61, s1
	s_clause 0x3
	global_load_dwordx4 v[55:58], v[59:60], off offset:856
	global_load_dwordx2 v[67:68], v[59:60], off offset:872
	global_load_dwordx4 v[59:62], v[65:66], off offset:856
	global_load_dwordx2 v[65:66], v[65:66], off offset:872
	v_lshrrev_b32_e32 v15, 16, v27
	v_lshrrev_b32_e32 v78, 16, v34
	;; [unrolled: 1-line block ×6, first 2 shown]
	s_waitcnt lgkmcnt(0)
	v_lshrrev_b32_e32 v77, 16, v7
	v_lshrrev_b32_e32 v74, 16, v28
	;; [unrolled: 1-line block ×3, first 2 shown]
	s_waitcnt vmcnt(0)
	s_barrier
	buffer_gl0_inv
	v_mul_f16_sdwa v86, v51, v84 dst_sel:DWORD dst_unused:UNUSED_PAD src0_sel:WORD_1 src1_sel:DWORD
	v_mul_f16_sdwa v87, v51, v18 dst_sel:DWORD dst_unused:UNUSED_PAD src0_sel:WORD_1 src1_sel:DWORD
	;; [unrolled: 1-line block ×12, first 2 shown]
	v_fmac_f16_e32 v86, v51, v18
	v_fma_f16 v18, v51, v84, -v87
	v_fmac_f16_e32 v88, v52, v33
	v_fma_f16 v33, v52, v85, -v89
	;; [unrolled: 2-line block ×3, first 2 shown]
	v_fmac_f16_e32 v92, v54, v35
	v_fmac_f16_e32 v96, v64, v31
	v_fma_f16 v31, v54, v82, -v93
	v_fma_f16 v35, v64, v80, -v97
	v_fmac_f16_e32 v94, v63, v24
	v_fma_f16 v24, v63, v81, -v95
	v_add_f16_e32 v51, v86, v96
	v_sub_f16_e32 v52, v86, v96
	v_add_f16_e32 v53, v18, v35
	v_sub_f16_e32 v18, v18, v35
	;; [unrolled: 2-line block ×6, first 2 shown]
	v_mul_f16_sdwa v31, v55, v79 dst_sel:DWORD dst_unused:UNUSED_PAD src0_sel:WORD_1 src1_sel:DWORD
	v_mul_f16_sdwa v81, v55, v29 dst_sel:DWORD dst_unused:UNUSED_PAD src0_sel:WORD_1 src1_sel:DWORD
	;; [unrolled: 1-line block ×4, first 2 shown]
	v_mul_f16_sdwa v84, v15, v57 dst_sel:DWORD dst_unused:UNUSED_PAD src0_sel:DWORD src1_sel:WORD_1
	v_mul_f16_sdwa v85, v27, v57 dst_sel:DWORD dst_unused:UNUSED_PAD src0_sel:DWORD src1_sel:WORD_1
	;; [unrolled: 1-line block ×20, first 2 shown]
	v_fmac_f16_e32 v82, v56, v34
	v_fmac_f16_e32 v86, v36, v58
	v_fma_f16 v34, v55, v79, -v81
	v_fma_f16 v36, v56, v78, -v83
	;; [unrolled: 1-line block ×3, first 2 shown]
	v_add_f16_e32 v56, v35, v51
	v_fma_f16 v58, v69, v58, -v87
	v_add_f16_e32 v69, v63, v53
	v_fmac_f16_e32 v31, v55, v29
	v_fmac_f16_e32 v84, v27, v57
	v_sub_f16_e32 v27, v35, v51
	v_sub_f16_e32 v29, v63, v53
	;; [unrolled: 1-line block ×6, first 2 shown]
	v_add_f16_e32 v57, v64, v54
	v_add_f16_e32 v63, v22, v24
	v_fmac_f16_e32 v90, v32, v68
	v_sub_f16_e32 v32, v64, v54
	v_sub_f16_e32 v78, v22, v24
	;; [unrolled: 1-line block ×4, first 2 shown]
	v_fmac_f16_e32 v88, v25, v67
	v_fma_f16 v25, v70, v67, -v89
	v_fma_f16 v67, v71, v68, -v91
	v_fmac_f16_e32 v92, v30, v59
	v_fma_f16 v30, v72, v59, -v93
	v_fmac_f16_e32 v94, v21, v60
	;; [unrolled: 2-line block ×4, first 2 shown]
	v_fma_f16 v7, v77, v66, -v103
	v_sub_f16_e32 v64, v52, v64
	v_sub_f16_e32 v22, v18, v22
	v_fmac_f16_e32 v96, v28, v61
	v_fma_f16 v28, v74, v61, -v97
	v_fmac_f16_e32 v98, v23, v62
	v_fma_f16 v23, v75, v62, -v99
	v_add_f16_e32 v33, v33, v56
	v_add_f16_e32 v56, v80, v69
	;; [unrolled: 1-line block ×4, first 2 shown]
	v_mul_f16_e32 v51, 0x3a52, v51
	v_mul_f16_e32 v53, 0x3a52, v53
	;; [unrolled: 1-line block ×8, first 2 shown]
	v_add_f16_e32 v63, v31, v90
	v_add_f16_e32 v65, v34, v67
	v_sub_f16_e32 v34, v34, v67
	v_add_f16_e32 v66, v82, v88
	v_add_f16_e32 v67, v36, v25
	v_sub_f16_e32 v31, v31, v90
	v_sub_f16_e32 v68, v82, v88
	;; [unrolled: 1-line block ×3, first 2 shown]
	v_add_f16_e32 v36, v84, v86
	v_add_f16_e32 v69, v15, v58
	v_sub_f16_e32 v70, v86, v84
	v_sub_f16_e32 v15, v58, v15
	v_add_f16_e32 v58, v92, v102
	v_add_f16_e32 v71, v30, v7
	v_sub_f16_e32 v7, v30, v7
	v_add_f16_e32 v30, v94, v100
	v_add_f16_e32 v73, v21, v26
	v_sub_f16_e32 v72, v92, v102
	v_sub_f16_e32 v74, v94, v100
	;; [unrolled: 1-line block ×3, first 2 shown]
	v_add_f16_e32 v26, v96, v98
	v_add_f16_e32 v75, v28, v23
	v_sub_f16_e32 v76, v98, v96
	v_sub_f16_e32 v23, v23, v28
	v_add_f16_e32 v28, v19, v33
	v_add_f16_sdwa v19, v19, v56 dst_sel:DWORD dst_unused:UNUSED_PAD src0_sel:WORD_1 src1_sel:DWORD
	v_fmamk_f16 v35, v35, 0x2b26, v51
	v_fmamk_f16 v55, v55, 0x2b26, v53
	v_fma_f16 v57, v27, 0x39e0, -v57
	v_fma_f16 v59, v29, 0x39e0, -v59
	;; [unrolled: 1-line block ×4, first 2 shown]
	v_fmamk_f16 v51, v64, 0xb574, v32
	v_fmamk_f16 v53, v22, 0xb574, v60
	v_fma_f16 v32, v54, 0xbb00, -v32
	v_fma_f16 v24, v24, 0xbb00, -v60
	;; [unrolled: 1-line block ×4, first 2 shown]
	v_add_f16_e32 v60, v66, v63
	v_add_f16_e32 v61, v67, v65
	v_sub_f16_e32 v62, v66, v63
	v_sub_f16_e32 v64, v67, v65
	;; [unrolled: 1-line block ×6, first 2 shown]
	v_add_f16_e32 v77, v70, v68
	v_sub_f16_e32 v79, v70, v68
	v_sub_f16_e32 v80, v15, v25
	;; [unrolled: 1-line block ×3, first 2 shown]
	v_add_f16_e32 v81, v30, v58
	v_add_f16_e32 v82, v73, v71
	;; [unrolled: 1-line block ×3, first 2 shown]
	v_sub_f16_e32 v25, v25, v34
	v_sub_f16_e32 v83, v30, v58
	;; [unrolled: 1-line block ×6, first 2 shown]
	v_add_f16_e32 v85, v76, v74
	v_add_f16_e32 v86, v23, v21
	v_sub_f16_e32 v87, v76, v74
	v_sub_f16_e32 v88, v23, v21
	;; [unrolled: 1-line block ×4, first 2 shown]
	v_fmamk_f16 v33, v33, 0xbcab, v28
	v_fmamk_f16 v56, v56, 0xbcab, v19
	v_fmac_f16_e32 v53, 0xb70e, v18
	v_fmac_f16_e32 v24, 0xb70e, v18
	;; [unrolled: 1-line block ×3, first 2 shown]
	v_pack_b32_f16 v18, v28, v19
	v_add_f16_e32 v19, v36, v60
	v_add_f16_e32 v28, v69, v61
	v_sub_f16_e32 v73, v75, v73
	v_sub_f16_e32 v70, v31, v70
	;; [unrolled: 1-line block ×3, first 2 shown]
	v_fmac_f16_e32 v51, 0xb70e, v52
	v_fmac_f16_e32 v32, 0xb70e, v52
	;; [unrolled: 1-line block ×3, first 2 shown]
	v_mul_f16_e32 v36, 0x3a52, v63
	v_mul_f16_e32 v52, 0x3a52, v65
	;; [unrolled: 1-line block ×7, first 2 shown]
	v_add_f16_e32 v26, v26, v81
	v_add_f16_e32 v75, v75, v82
	v_sub_f16_e32 v76, v72, v76
	v_sub_f16_e32 v23, v7, v23
	v_add_f16_e32 v31, v77, v31
	v_add_f16_e32 v34, v78, v34
	v_mul_f16_e32 v77, 0xbb00, v25
	v_add_f16_e32 v72, v85, v72
	v_mul_f16_e32 v58, 0x3a52, v58
	v_mul_f16_e32 v71, 0x3a52, v71
	;; [unrolled: 1-line block ×7, first 2 shown]
	v_add_f16_e32 v35, v35, v33
	v_add_f16_e32 v55, v55, v56
	;; [unrolled: 1-line block ×7, first 2 shown]
	v_add_f16_sdwa v20, v20, v28 dst_sel:DWORD dst_unused:UNUSED_PAD src0_sel:WORD_1 src1_sel:DWORD
	v_mul_f16_e32 v79, 0x2b26, v73
	v_fmamk_f16 v56, v66, 0x2b26, v36
	v_fmamk_f16 v66, v67, 0x2b26, v52
	v_fma_f16 v60, v62, 0x39e0, -v60
	v_fma_f16 v61, v64, 0x39e0, -v61
	;; [unrolled: 1-line block ×4, first 2 shown]
	v_fmamk_f16 v62, v70, 0xb574, v63
	v_fmamk_f16 v64, v15, 0xb574, v65
	v_fma_f16 v63, v68, 0xbb00, -v63
	v_fma_f16 v25, v25, 0xbb00, -v65
	;; [unrolled: 1-line block ×3, first 2 shown]
	v_add_f16_e32 v67, v17, v26
	v_add_f16_sdwa v17, v17, v75 dst_sel:DWORD dst_unused:UNUSED_PAD src0_sel:WORD_1 src1_sel:DWORD
	v_add_f16_e32 v7, v86, v7
	v_fma_f16 v15, v15, 0x3574, -v77
	v_fmamk_f16 v30, v30, 0x2b26, v58
	v_fmamk_f16 v68, v73, 0x2b26, v71
	v_fma_f16 v69, v83, 0x39e0, -v78
	v_fma_f16 v58, v83, 0xb9e0, -v58
	v_fmamk_f16 v73, v76, 0xb574, v80
	v_fmamk_f16 v77, v23, 0xb574, v81
	v_fma_f16 v74, v74, 0xbb00, -v80
	v_fma_f16 v21, v21, 0xbb00, -v81
	;; [unrolled: 1-line block ×4, first 2 shown]
	v_add_f16_e32 v78, v53, v35
	v_add_f16_e32 v80, v22, v27
	v_sub_f16_e32 v81, v29, v54
	v_sub_f16_e32 v82, v57, v24
	v_add_f16_e32 v83, v32, v59
	v_add_f16_e32 v24, v24, v57
	v_sub_f16_e32 v32, v59, v32
	v_sub_f16_e32 v22, v27, v22
	v_add_f16_e32 v27, v54, v29
	v_sub_f16_e32 v29, v35, v53
	v_add_f16_e32 v35, v51, v55
	v_fmamk_f16 v19, v19, 0xbcab, v33
	v_fmamk_f16 v28, v28, 0xbcab, v20
	v_fma_f16 v70, v84, 0x39e0, -v79
	v_sub_f16_e32 v79, v55, v51
	v_fmac_f16_e32 v62, 0xb70e, v31
	v_fmac_f16_e32 v63, 0xb70e, v31
	;; [unrolled: 1-line block ×3, first 2 shown]
	v_fmamk_f16 v26, v26, 0xbcab, v67
	v_fmamk_f16 v31, v75, 0xbcab, v17
	v_fma_f16 v71, v84, 0xb9e0, -v71
	v_fmac_f16_e32 v64, 0xb70e, v34
	v_fmac_f16_e32 v15, 0xb70e, v34
	;; [unrolled: 1-line block ×5, first 2 shown]
	v_pack_b32_f16 v7, v33, v20
	v_pack_b32_f16 v24, v24, v32
	;; [unrolled: 1-line block ×4, first 2 shown]
	v_add_f16_e32 v29, v56, v19
	v_add_f16_e32 v32, v66, v28
	;; [unrolled: 1-line block ×6, first 2 shown]
	v_fmac_f16_e32 v25, 0xb70e, v34
	v_pack_b32_f16 v17, v67, v17
	v_pack_b32_f16 v20, v78, v79
	v_fmac_f16_e32 v73, 0xb70e, v72
	v_add_f16_e32 v30, v30, v26
	v_add_f16_e32 v36, v68, v31
	v_fmac_f16_e32 v76, 0xb70e, v72
	v_add_f16_e32 v52, v69, v26
	v_add_f16_e32 v53, v70, v31
	;; [unrolled: 1-line block ×4, first 2 shown]
	v_fmac_f16_e32 v74, 0xb70e, v72
	ds_write2_b32 v0, v18, v7 offset1:63
	ds_write2_b32 v0, v17, v20 offset0:126 offset1:216
	v_add_f16_e32 v7, v64, v29
	v_sub_f16_e32 v17, v32, v62
	v_add_f16_e32 v18, v15, v19
	v_sub_f16_e32 v20, v28, v65
	v_sub_f16_e32 v54, v35, v25
	v_add_f16_e32 v25, v25, v35
	v_sub_f16_e32 v35, v51, v63
	;; [unrolled: 3-line block ×3, first 2 shown]
	v_add_f16_e32 v29, v62, v32
	v_add_f16_e32 v55, v63, v51
	;; [unrolled: 1-line block ×3, first 2 shown]
	v_sub_f16_e32 v51, v36, v73
	v_add_f16_e32 v56, v23, v26
	v_sub_f16_e32 v57, v31, v76
	v_pack_b32_f16 v33, v80, v81
	v_sub_f16_e32 v58, v52, v21
	v_add_f16_e32 v59, v74, v53
	v_add_f16_e32 v21, v21, v52
	v_sub_f16_e32 v52, v53, v74
	v_sub_f16_e32 v23, v26, v23
	v_add_f16_e32 v26, v76, v31
	v_sub_f16_e32 v30, v30, v77
	v_add_f16_e32 v31, v73, v36
	v_pack_b32_f16 v7, v7, v17
	v_pack_b32_f16 v17, v18, v20
	;; [unrolled: 1-line block ×13, first 2 shown]
	ds_write2_b32 v41, v33, v17 offset0:176 offset1:239
	ds_write2_b32 v38, v24, v20 offset0:96 offset1:159
	;; [unrolled: 1-line block ×8, first 2 shown]
	ds_write_b32 v0, v26 offset:5688
	s_and_saveexec_b32 s1, s0
	s_cbranch_execz .LBB0_23
; %bb.22:
	v_subrev_nc_u32_e32 v7, 27, v3
	v_add_nc_u32_e32 v15, 0x980, v0
	v_add_nc_u32_e32 v21, 0x1000, v0
	v_cndmask_b32_e64 v4, v7, v4, s0
	v_mul_i32_i24_e32 v7, 6, v4
	v_add_nc_u32_e32 v4, 0x280, v0
	v_lshlrev_b64 v[7:8], 2, v[7:8]
	v_add_co_u32 v7, s0, s12, v7
	v_add_co_ci_u32_e64 v8, s0, s13, v8, s0
	s_clause 0x1
	global_load_dwordx4 v[17:20], v[7:8], off offset:856
	global_load_dwordx2 v[7:8], v[7:8], off offset:872
	s_waitcnt vmcnt(1)
	v_mul_f16_sdwa v22, v9, v17 dst_sel:DWORD dst_unused:UNUSED_PAD src0_sel:DWORD src1_sel:WORD_1
	s_waitcnt vmcnt(0)
	v_mul_f16_sdwa v23, v48, v8 dst_sel:DWORD dst_unused:UNUSED_PAD src0_sel:DWORD src1_sel:WORD_1
	v_mul_f16_sdwa v24, v46, v20 dst_sel:DWORD dst_unused:UNUSED_PAD src0_sel:DWORD src1_sel:WORD_1
	;; [unrolled: 1-line block ×11, first 2 shown]
	v_fmac_f16_e32 v22, v12, v17
	v_fmac_f16_e32 v23, v49, v8
	;; [unrolled: 1-line block ×6, first 2 shown]
	v_fma_f16 v8, v48, v8, -v28
	v_fma_f16 v9, v9, v17, -v29
	;; [unrolled: 1-line block ×6, first 2 shown]
	v_sub_f16_e32 v14, v22, v23
	v_sub_f16_e32 v16, v24, v25
	v_add_f16_e32 v18, v9, v8
	v_add_f16_e32 v20, v13, v7
	;; [unrolled: 1-line block ×5, first 2 shown]
	v_sub_f16_e32 v17, v26, v27
	v_add_f16_e32 v19, v10, v12
	v_sub_f16_e32 v8, v9, v8
	v_sub_f16_e32 v9, v12, v10
	;; [unrolled: 1-line block ×3, first 2 shown]
	v_add_f16_e32 v26, v20, v18
	v_add_f16_e32 v29, v24, v22
	v_sub_f16_e32 v10, v14, v16
	v_sub_f16_e32 v12, v16, v17
	v_add_f16_e32 v13, v16, v17
	v_sub_f16_e32 v16, v18, v19
	v_sub_f16_e32 v25, v19, v20
	v_sub_f16_e32 v27, v22, v23
	v_sub_f16_e32 v28, v23, v24
	v_sub_f16_e32 v30, v8, v9
	v_sub_f16_e32 v31, v9, v7
	v_add_f16_e32 v9, v9, v7
	v_sub_f16_e32 v17, v17, v14
	v_sub_f16_e32 v7, v7, v8
	v_add_f16_e32 v19, v19, v26
	v_add_f16_e32 v23, v23, v29
	v_sub_f16_e32 v18, v20, v18
	v_sub_f16_e32 v20, v24, v22
	v_mul_f16_e32 v12, 0x3846, v12
	v_add_f16_e32 v13, v13, v14
	v_mul_f16_e32 v14, 0x3a52, v16
	v_mul_f16_e32 v16, 0x2b26, v25
	;; [unrolled: 1-line block ×4, first 2 shown]
	v_add_f16_e32 v8, v9, v8
	v_mul_f16_e32 v9, 0xbb00, v17
	v_mul_f16_e32 v27, 0xbb00, v7
	v_add_f16_e32 v31, v45, v19
	v_add_f16_e32 v11, v11, v23
	v_mul_f16_e32 v24, 0x2b26, v28
	v_fmamk_f16 v29, v10, 0xb574, v12
	v_fmamk_f16 v25, v25, 0x2b26, v14
	;; [unrolled: 1-line block ×4, first 2 shown]
	v_fma_f16 v9, v10, 0x3574, -v9
	v_fma_f16 v10, v18, 0xb9e0, -v14
	;; [unrolled: 1-line block ×7, first 2 shown]
	v_fmamk_f16 v18, v19, 0xbcab, v31
	v_fmamk_f16 v19, v23, 0xbcab, v11
	v_fma_f16 v17, v20, 0x39e0, -v24
	v_fmac_f16_e32 v29, 0xb70e, v13
	v_fmac_f16_e32 v32, 0xb70e, v8
	;; [unrolled: 1-line block ×6, first 2 shown]
	v_pack_b32_f16 v8, v11, v31
	v_add_f16_e32 v11, v25, v18
	v_add_f16_e32 v13, v28, v19
	;; [unrolled: 1-line block ×8, first 2 shown]
	v_sub_f16_e32 v9, v10, v9
	v_sub_f16_e32 v10, v11, v29
	v_add_f16_e32 v11, v32, v13
	v_sub_f16_e32 v19, v13, v32
	v_sub_f16_e32 v23, v16, v12
	v_add_f16_e32 v12, v12, v16
	v_add_f16_e32 v13, v22, v14
	v_sub_f16_e32 v16, v17, v7
	v_add_f16_e32 v7, v7, v17
	v_sub_f16_e32 v14, v14, v22
	v_pack_b32_f16 v10, v11, v10
	v_pack_b32_f16 v9, v13, v9
	;; [unrolled: 1-line block ×6, first 2 shown]
	ds_write2_b32 v4, v8, v10 offset0:29 offset1:245
	ds_write2_b32 v15, v9, v11 offset0:13 offset1:229
	;; [unrolled: 1-line block ×3, first 2 shown]
	ds_write_b32 v0, v13 offset:5940
.LBB0_23:
	s_or_b32 exec_lo, exec_lo, s1
	s_waitcnt lgkmcnt(0)
	s_barrier
	buffer_gl0_inv
	s_and_saveexec_b32 s0, vcc_lo
	s_cbranch_execz .LBB0_25
; %bb.24:
	v_mul_lo_u32 v0, s3, v5
	v_mul_lo_u32 v7, s2, v6
	v_mad_u64_u32 v[5:6], null, s2, v5, 0
	v_lshl_add_u32 v19, v3, 2, 0
	v_mov_b32_e32 v4, 0
	v_add_nc_u32_e32 v9, 0x7e, v3
	ds_read2_b32 v[11:12], v19 offset1:63
	v_add3_u32 v6, v6, v7, v0
	v_lshlrev_b64 v[0:1], 2, v[1:2]
	v_add_nc_u32_e32 v7, 63, v3
	v_mov_b32_e32 v8, v4
	ds_read2_b32 v[15:16], v19 offset0:126 offset1:189
	v_lshlrev_b64 v[5:6], 2, v[5:6]
	v_lshlrev_b64 v[13:14], 2, v[3:4]
	v_mov_b32_e32 v10, v4
	v_mov_b32_e32 v18, v4
	v_add_co_u32 v2, vcc_lo, s10, v5
	v_add_co_ci_u32_e32 v17, vcc_lo, s11, v6, vcc_lo
	v_lshlrev_b64 v[5:6], 2, v[7:8]
	v_add_co_u32 v20, vcc_lo, v2, v0
	v_add_co_ci_u32_e32 v21, vcc_lo, v17, v1, vcc_lo
	v_lshlrev_b64 v[0:1], 2, v[9:10]
	v_add_co_u32 v7, vcc_lo, v20, v13
	v_add_co_ci_u32_e32 v8, vcc_lo, v21, v14, vcc_lo
	v_add_co_u32 v5, vcc_lo, v20, v5
	v_add_co_ci_u32_e32 v6, vcc_lo, v21, v6, vcc_lo
	;; [unrolled: 2-line block ×3, first 2 shown]
	v_add_nc_u32_e32 v9, 0xbd, v3
	v_add_nc_u32_e32 v2, 0x200, v19
	s_waitcnt lgkmcnt(1)
	global_store_dword v[7:8], v11, off
	global_store_dword v[5:6], v12, off
	s_waitcnt lgkmcnt(0)
	global_store_dword v[0:1], v15, off
	v_add_nc_u32_e32 v12, 0x400, v19
	v_add_nc_u32_e32 v5, 0xfc, v3
	v_mov_b32_e32 v6, v4
	v_lshlrev_b64 v[0:1], 2, v[9:10]
	ds_read2_b32 v[9:10], v2 offset0:124 offset1:187
	v_add_nc_u32_e32 v7, 0x13b, v3
	v_mov_b32_e32 v8, v4
	ds_read2_b32 v[13:14], v12 offset0:122 offset1:185
	v_lshlrev_b64 v[5:6], 2, v[5:6]
	v_add_nc_u32_e32 v11, 0x17a, v3
	v_mov_b32_e32 v12, v4
	v_add_co_u32 v0, vcc_lo, v20, v0
	v_lshlrev_b64 v[7:8], 2, v[7:8]
	v_add_co_ci_u32_e32 v1, vcc_lo, v21, v1, vcc_lo
	v_add_co_u32 v5, vcc_lo, v20, v5
	v_lshlrev_b64 v[11:12], 2, v[11:12]
	v_add_co_ci_u32_e32 v6, vcc_lo, v21, v6, vcc_lo
	v_add_co_u32 v7, vcc_lo, v20, v7
	v_add_co_ci_u32_e32 v8, vcc_lo, v21, v8, vcc_lo
	v_add_co_u32 v11, vcc_lo, v20, v11
	v_add_co_ci_u32_e32 v12, vcc_lo, v21, v12, vcc_lo
	v_add_nc_u32_e32 v17, 0x1b9, v3
	v_add_nc_u32_e32 v2, 0x600, v19
	global_store_dword v[0:1], v16, off
	s_waitcnt lgkmcnt(1)
	global_store_dword v[5:6], v9, off
	global_store_dword v[7:8], v10, off
	s_waitcnt lgkmcnt(0)
	global_store_dword v[11:12], v13, off
	v_add_nc_u32_e32 v12, 0x800, v19
	v_add_nc_u32_e32 v5, 0x1f8, v3
	v_mov_b32_e32 v6, v4
	v_lshlrev_b64 v[0:1], 2, v[17:18]
	ds_read2_b32 v[9:10], v2 offset0:120 offset1:183
	v_add_nc_u32_e32 v7, 0x237, v3
	v_mov_b32_e32 v8, v4
	ds_read2_b32 v[15:16], v12 offset0:118 offset1:181
	v_lshlrev_b64 v[5:6], 2, v[5:6]
	v_add_nc_u32_e32 v11, 0x276, v3
	v_mov_b32_e32 v12, v4
	v_add_co_u32 v0, vcc_lo, v20, v0
	v_lshlrev_b64 v[7:8], 2, v[7:8]
	v_add_co_ci_u32_e32 v1, vcc_lo, v21, v1, vcc_lo
	v_add_co_u32 v5, vcc_lo, v20, v5
	v_lshlrev_b64 v[11:12], 2, v[11:12]
	v_add_co_ci_u32_e32 v6, vcc_lo, v21, v6, vcc_lo
	v_add_co_u32 v7, vcc_lo, v20, v7
	v_add_co_ci_u32_e32 v8, vcc_lo, v21, v8, vcc_lo
	v_add_co_u32 v11, vcc_lo, v20, v11
	v_add_co_ci_u32_e32 v12, vcc_lo, v21, v12, vcc_lo
	v_add_nc_u32_e32 v17, 0x2b5, v3
	v_add_nc_u32_e32 v2, 0xa00, v19
	global_store_dword v[0:1], v14, off
	;; [unrolled: 29-line block ×3, first 2 shown]
	s_waitcnt lgkmcnt(1)
	global_store_dword v[5:6], v9, off
	global_store_dword v[7:8], v10, off
	s_waitcnt lgkmcnt(0)
	global_store_dword v[11:12], v13, off
	v_add_nc_u32_e32 v12, 0x1000, v19
	v_add_nc_u32_e32 v5, 0x3f0, v3
	v_mov_b32_e32 v6, v4
	v_lshlrev_b64 v[0:1], 2, v[17:18]
	ds_read2_b32 v[9:10], v2 offset0:112 offset1:175
	v_add_nc_u32_e32 v7, 0x42f, v3
	v_mov_b32_e32 v8, v4
	ds_read2_b32 v[15:16], v12 offset0:110 offset1:173
	v_lshlrev_b64 v[5:6], 2, v[5:6]
	v_add_nc_u32_e32 v11, 0x46e, v3
	v_mov_b32_e32 v12, v4
	v_add_co_u32 v0, vcc_lo, v20, v0
	v_lshlrev_b64 v[7:8], 2, v[7:8]
	v_add_co_ci_u32_e32 v1, vcc_lo, v21, v1, vcc_lo
	v_add_co_u32 v5, vcc_lo, v20, v5
	v_lshlrev_b64 v[11:12], 2, v[11:12]
	v_add_co_ci_u32_e32 v6, vcc_lo, v21, v6, vcc_lo
	v_add_co_u32 v7, vcc_lo, v20, v7
	v_add_co_ci_u32_e32 v8, vcc_lo, v21, v8, vcc_lo
	v_add_co_u32 v11, vcc_lo, v20, v11
	v_add_nc_u32_e32 v2, 0x1200, v19
	v_add_nc_u32_e32 v17, 0x4ad, v3
	v_add_co_ci_u32_e32 v12, vcc_lo, v21, v12, vcc_lo
	global_store_dword v[0:1], v14, off
	s_waitcnt lgkmcnt(1)
	global_store_dword v[5:6], v9, off
	global_store_dword v[7:8], v10, off
	s_waitcnt lgkmcnt(0)
	global_store_dword v[11:12], v15, off
	v_add_nc_u32_e32 v5, 0x4ec, v3
	v_mov_b32_e32 v6, v4
	ds_read2_b32 v[9:10], v2 offset0:108 offset1:171
	v_add_nc_u32_e32 v2, 0x1400, v19
	v_lshlrev_b64 v[0:1], 2, v[17:18]
	v_add_nc_u32_e32 v7, 0x52b, v3
	v_mov_b32_e32 v8, v4
	v_lshlrev_b64 v[5:6], 2, v[5:6]
	v_add_nc_u32_e32 v11, 0x56a, v3
	v_mov_b32_e32 v12, v4
	ds_read2_b32 v[13:14], v2 offset0:106 offset1:169
	v_add_co_u32 v0, vcc_lo, v20, v0
	v_lshlrev_b64 v[7:8], 2, v[7:8]
	v_add_nc_u32_e32 v3, 0x5a9, v3
	v_add_co_ci_u32_e32 v1, vcc_lo, v21, v1, vcc_lo
	v_add_co_u32 v5, vcc_lo, v20, v5
	v_lshlrev_b64 v[11:12], 2, v[11:12]
	v_add_co_ci_u32_e32 v6, vcc_lo, v21, v6, vcc_lo
	v_add_co_u32 v7, vcc_lo, v20, v7
	v_lshlrev_b64 v[2:3], 2, v[3:4]
	v_add_co_ci_u32_e32 v8, vcc_lo, v21, v8, vcc_lo
	v_add_co_u32 v11, vcc_lo, v20, v11
	v_add_co_ci_u32_e32 v12, vcc_lo, v21, v12, vcc_lo
	v_add_co_u32 v2, vcc_lo, v20, v2
	v_add_co_ci_u32_e32 v3, vcc_lo, v21, v3, vcc_lo
	global_store_dword v[0:1], v16, off
	s_waitcnt lgkmcnt(1)
	global_store_dword v[5:6], v9, off
	global_store_dword v[7:8], v10, off
	s_waitcnt lgkmcnt(0)
	global_store_dword v[11:12], v13, off
	global_store_dword v[2:3], v14, off
.LBB0_25:
	s_endpgm
	.section	.rodata,"a",@progbits
	.p2align	6, 0x0
	.amdhsa_kernel fft_rtc_back_len1512_factors_2_2_2_3_3_3_7_wgs_63_tpt_63_halfLds_half_op_CI_CI_unitstride_sbrr_C2R_dirReg
		.amdhsa_group_segment_fixed_size 0
		.amdhsa_private_segment_fixed_size 0
		.amdhsa_kernarg_size 104
		.amdhsa_user_sgpr_count 6
		.amdhsa_user_sgpr_private_segment_buffer 1
		.amdhsa_user_sgpr_dispatch_ptr 0
		.amdhsa_user_sgpr_queue_ptr 0
		.amdhsa_user_sgpr_kernarg_segment_ptr 1
		.amdhsa_user_sgpr_dispatch_id 0
		.amdhsa_user_sgpr_flat_scratch_init 0
		.amdhsa_user_sgpr_private_segment_size 0
		.amdhsa_wavefront_size32 1
		.amdhsa_uses_dynamic_stack 0
		.amdhsa_system_sgpr_private_segment_wavefront_offset 0
		.amdhsa_system_sgpr_workgroup_id_x 1
		.amdhsa_system_sgpr_workgroup_id_y 0
		.amdhsa_system_sgpr_workgroup_id_z 0
		.amdhsa_system_sgpr_workgroup_info 0
		.amdhsa_system_vgpr_workitem_id 0
		.amdhsa_next_free_vgpr 110
		.amdhsa_next_free_sgpr 27
		.amdhsa_reserve_vcc 1
		.amdhsa_reserve_flat_scratch 0
		.amdhsa_float_round_mode_32 0
		.amdhsa_float_round_mode_16_64 0
		.amdhsa_float_denorm_mode_32 3
		.amdhsa_float_denorm_mode_16_64 3
		.amdhsa_dx10_clamp 1
		.amdhsa_ieee_mode 1
		.amdhsa_fp16_overflow 0
		.amdhsa_workgroup_processor_mode 1
		.amdhsa_memory_ordered 1
		.amdhsa_forward_progress 0
		.amdhsa_shared_vgpr_count 0
		.amdhsa_exception_fp_ieee_invalid_op 0
		.amdhsa_exception_fp_denorm_src 0
		.amdhsa_exception_fp_ieee_div_zero 0
		.amdhsa_exception_fp_ieee_overflow 0
		.amdhsa_exception_fp_ieee_underflow 0
		.amdhsa_exception_fp_ieee_inexact 0
		.amdhsa_exception_int_div_zero 0
	.end_amdhsa_kernel
	.text
.Lfunc_end0:
	.size	fft_rtc_back_len1512_factors_2_2_2_3_3_3_7_wgs_63_tpt_63_halfLds_half_op_CI_CI_unitstride_sbrr_C2R_dirReg, .Lfunc_end0-fft_rtc_back_len1512_factors_2_2_2_3_3_3_7_wgs_63_tpt_63_halfLds_half_op_CI_CI_unitstride_sbrr_C2R_dirReg
                                        ; -- End function
	.section	.AMDGPU.csdata,"",@progbits
; Kernel info:
; codeLenInByte = 18044
; NumSgprs: 29
; NumVgprs: 110
; ScratchSize: 0
; MemoryBound: 0
; FloatMode: 240
; IeeeMode: 1
; LDSByteSize: 0 bytes/workgroup (compile time only)
; SGPRBlocks: 3
; VGPRBlocks: 13
; NumSGPRsForWavesPerEU: 29
; NumVGPRsForWavesPerEU: 110
; Occupancy: 9
; WaveLimiterHint : 1
; COMPUTE_PGM_RSRC2:SCRATCH_EN: 0
; COMPUTE_PGM_RSRC2:USER_SGPR: 6
; COMPUTE_PGM_RSRC2:TRAP_HANDLER: 0
; COMPUTE_PGM_RSRC2:TGID_X_EN: 1
; COMPUTE_PGM_RSRC2:TGID_Y_EN: 0
; COMPUTE_PGM_RSRC2:TGID_Z_EN: 0
; COMPUTE_PGM_RSRC2:TIDIG_COMP_CNT: 0
	.text
	.p2alignl 6, 3214868480
	.fill 48, 4, 3214868480
	.type	__hip_cuid_ba88050918e0f198,@object ; @__hip_cuid_ba88050918e0f198
	.section	.bss,"aw",@nobits
	.globl	__hip_cuid_ba88050918e0f198
__hip_cuid_ba88050918e0f198:
	.byte	0                               ; 0x0
	.size	__hip_cuid_ba88050918e0f198, 1

	.ident	"AMD clang version 19.0.0git (https://github.com/RadeonOpenCompute/llvm-project roc-6.4.0 25133 c7fe45cf4b819c5991fe208aaa96edf142730f1d)"
	.section	".note.GNU-stack","",@progbits
	.addrsig
	.addrsig_sym __hip_cuid_ba88050918e0f198
	.amdgpu_metadata
---
amdhsa.kernels:
  - .args:
      - .actual_access:  read_only
        .address_space:  global
        .offset:         0
        .size:           8
        .value_kind:     global_buffer
      - .offset:         8
        .size:           8
        .value_kind:     by_value
      - .actual_access:  read_only
        .address_space:  global
        .offset:         16
        .size:           8
        .value_kind:     global_buffer
      - .actual_access:  read_only
        .address_space:  global
        .offset:         24
        .size:           8
        .value_kind:     global_buffer
      - .actual_access:  read_only
        .address_space:  global
        .offset:         32
        .size:           8
        .value_kind:     global_buffer
      - .offset:         40
        .size:           8
        .value_kind:     by_value
      - .actual_access:  read_only
        .address_space:  global
        .offset:         48
        .size:           8
        .value_kind:     global_buffer
      - .actual_access:  read_only
        .address_space:  global
        .offset:         56
        .size:           8
        .value_kind:     global_buffer
      - .offset:         64
        .size:           4
        .value_kind:     by_value
      - .actual_access:  read_only
        .address_space:  global
        .offset:         72
        .size:           8
        .value_kind:     global_buffer
      - .actual_access:  read_only
        .address_space:  global
        .offset:         80
        .size:           8
        .value_kind:     global_buffer
      - .actual_access:  read_only
        .address_space:  global
        .offset:         88
        .size:           8
        .value_kind:     global_buffer
      - .actual_access:  write_only
        .address_space:  global
        .offset:         96
        .size:           8
        .value_kind:     global_buffer
    .group_segment_fixed_size: 0
    .kernarg_segment_align: 8
    .kernarg_segment_size: 104
    .language:       OpenCL C
    .language_version:
      - 2
      - 0
    .max_flat_workgroup_size: 63
    .name:           fft_rtc_back_len1512_factors_2_2_2_3_3_3_7_wgs_63_tpt_63_halfLds_half_op_CI_CI_unitstride_sbrr_C2R_dirReg
    .private_segment_fixed_size: 0
    .sgpr_count:     29
    .sgpr_spill_count: 0
    .symbol:         fft_rtc_back_len1512_factors_2_2_2_3_3_3_7_wgs_63_tpt_63_halfLds_half_op_CI_CI_unitstride_sbrr_C2R_dirReg.kd
    .uniform_work_group_size: 1
    .uses_dynamic_stack: false
    .vgpr_count:     110
    .vgpr_spill_count: 0
    .wavefront_size: 32
    .workgroup_processor_mode: 1
amdhsa.target:   amdgcn-amd-amdhsa--gfx1030
amdhsa.version:
  - 1
  - 2
...

	.end_amdgpu_metadata
